;; amdgpu-corpus repo=ROCm/rocFFT kind=compiled arch=gfx950 opt=O3
	.text
	.amdgcn_target "amdgcn-amd-amdhsa--gfx950"
	.amdhsa_code_object_version 6
	.protected	bluestein_single_fwd_len616_dim1_sp_op_CI_CI ; -- Begin function bluestein_single_fwd_len616_dim1_sp_op_CI_CI
	.globl	bluestein_single_fwd_len616_dim1_sp_op_CI_CI
	.p2align	8
	.type	bluestein_single_fwd_len616_dim1_sp_op_CI_CI,@function
bluestein_single_fwd_len616_dim1_sp_op_CI_CI: ; @bluestein_single_fwd_len616_dim1_sp_op_CI_CI
; %bb.0:
	s_load_dwordx4 s[12:15], s[0:1], 0x28
	v_mul_u32_u24_e32 v1, 0x2e9, v0
	v_add_u32_sdwa v48, s2, v1 dst_sel:DWORD dst_unused:UNUSED_PAD src0_sel:DWORD src1_sel:WORD_1
	v_mov_b32_e32 v49, 0
	s_waitcnt lgkmcnt(0)
	v_cmp_gt_u64_e32 vcc, s[12:13], v[48:49]
	s_and_saveexec_b64 s[2:3], vcc
	s_cbranch_execz .LBB0_23
; %bb.1:
	s_load_dwordx2 s[12:13], s[0:1], 0x0
	s_load_dwordx2 s[16:17], s[0:1], 0x38
	s_movk_i32 s2, 0x58
	v_mul_lo_u16_sdwa v1, v1, s2 dst_sel:DWORD dst_unused:UNUSED_PAD src0_sel:WORD_1 src1_sel:DWORD
	v_sub_u16_e32 v49, v0, v1
	v_cmp_gt_u16_e64 s[6:7], 56, v49
	v_lshlrev_b32_e32 v46, 3, v49
	s_and_saveexec_b64 s[2:3], s[6:7]
	s_cbranch_execz .LBB0_3
; %bb.2:
	s_load_dwordx2 s[4:5], s[0:1], 0x18
	v_mov_b32_e32 v0, s14
	v_mov_b32_e32 v1, s15
	;; [unrolled: 1-line block ×3, first 2 shown]
	v_or_b32_e32 v39, 0x1c0, v49
	s_waitcnt lgkmcnt(0)
	s_load_dwordx4 s[8:11], s[4:5], 0x0
	v_mov_b32_e32 v47, 0
	s_waitcnt lgkmcnt(0)
	v_mad_u64_u32 v[2:3], s[4:5], s10, v48, 0
	v_mad_u64_u32 v[4:5], s[4:5], s8, v49, 0
	v_mov_b32_e32 v6, v3
	v_mov_b32_e32 v8, v5
	v_mad_u64_u32 v[6:7], s[4:5], s11, v48, v[6:7]
	v_mov_b32_e32 v3, v6
	v_mad_u64_u32 v[6:7], s[4:5], s9, v49, v[8:9]
	v_mov_b32_e32 v5, v6
	v_lshl_add_u64 v[0:1], v[2:3], 3, v[0:1]
	v_lshl_add_u64 v[2:3], v[4:5], 3, v[0:1]
	global_load_dwordx2 v[4:5], v[2:3], off
	v_mad_u64_u32 v[2:3], s[4:5], s8, v44, v[2:3]
	s_mul_i32 s10, s9, 0x1c0
	v_add_u32_e32 v3, s10, v3
	v_mad_u64_u32 v[8:9], s[4:5], s8, v44, v[2:3]
	v_add_u32_e32 v9, s10, v9
	v_mad_u64_u32 v[16:17], s[4:5], s8, v44, v[8:9]
	v_add_u32_e32 v17, s10, v17
	v_mad_u64_u32 v[18:19], s[4:5], s8, v44, v[16:17]
	v_add_u32_e32 v19, s10, v19
	global_load_dwordx2 v[10:11], v46, s[12:13]
	global_load_dwordx2 v[12:13], v46, s[12:13] offset:448
	global_load_dwordx2 v[14:15], v46, s[12:13] offset:896
	global_load_dwordx2 v[20:21], v[2:3], off
	global_load_dwordx2 v[22:23], v[8:9], off
	;; [unrolled: 1-line block ×4, first 2 shown]
	v_mad_u64_u32 v[2:3], s[4:5], s8, v44, v[18:19]
	v_add_u32_e32 v3, s10, v3
	v_mad_u64_u32 v[36:37], s[4:5], s8, v39, 0
	global_load_dwordx2 v[8:9], v[2:3], off
	v_mad_u64_u32 v[2:3], s[4:5], s8, v44, v[2:3]
	v_mov_b32_e32 v38, v37
	v_add_u32_e32 v3, s10, v3
	v_mad_u64_u32 v[38:39], s[4:5], s9, v39, v[38:39]
	global_load_dwordx2 v[16:17], v[2:3], off
	global_load_dwordx2 v[18:19], v46, s[12:13] offset:1344
	global_load_dwordx2 v[28:29], v46, s[12:13] offset:1792
	;; [unrolled: 1-line block ×4, first 2 shown]
	v_mad_u64_u32 v[2:3], s[4:5], s8, v44, v[2:3]
	v_mov_b32_e32 v37, v38
	v_add_u32_e32 v3, s10, v3
	v_lshl_add_u64 v[0:1], v[36:37], 3, v[0:1]
	v_mov_b32_e32 v36, 0x380
	global_load_dwordx2 v[34:35], v[2:3], off
	v_mad_u64_u32 v[2:3], s[4:5], s8, v36, v[2:3]
	global_load_dwordx2 v[36:37], v46, s[12:13] offset:3136
	s_mul_i32 s4, s9, 0x380
	global_load_dwordx2 v[0:1], v[0:1], off
	v_add_u32_e32 v3, s4, v3
	v_lshl_add_u64 v[6:7], s[12:13], 0, v[46:47]
	global_load_dwordx2 v[38:39], v[2:3], off
	global_load_dwordx2 v[40:41], v46, s[12:13] offset:3584
	global_load_dwordx2 v[42:43], v46, s[12:13] offset:4032
	v_add_co_u32_e32 v6, vcc, 0x1000, v6
	v_mad_u64_u32 v[2:3], s[4:5], s8, v44, v[2:3]
	s_nop 0
	v_addc_co_u32_e32 v7, vcc, 0, v7, vcc
	v_add_u32_e32 v3, s10, v3
	global_load_dwordx2 v[44:45], v[6:7], off offset:384
	global_load_dwordx2 v[50:51], v[2:3], off
	v_add_u32_e32 v6, 0x400, v46
	s_waitcnt vmcnt(20)
	v_mul_f32_e32 v2, v5, v11
	v_mul_f32_e32 v3, v4, v11
	v_fmac_f32_e32 v2, v4, v10
	v_fma_f32 v3, v5, v10, -v3
	s_waitcnt vmcnt(17)
	v_mul_f32_e32 v4, v21, v13
	v_mul_f32_e32 v5, v20, v13
	v_fmac_f32_e32 v4, v20, v12
	v_fma_f32 v5, v21, v12, -v5
	ds_write2_b64 v46, v[2:3], v[4:5] offset1:56
	s_waitcnt vmcnt(16)
	v_mul_f32_e32 v2, v23, v15
	v_mul_f32_e32 v3, v22, v15
	v_fmac_f32_e32 v2, v22, v14
	v_fma_f32 v3, v23, v14, -v3
	s_waitcnt vmcnt(11)
	v_mul_f32_e32 v4, v25, v19
	v_mul_f32_e32 v5, v24, v19
	v_fmac_f32_e32 v4, v24, v18
	v_fma_f32 v5, v25, v18, -v5
	ds_write2_b64 v46, v[2:3], v[4:5] offset0:112 offset1:168
	s_waitcnt vmcnt(10)
	v_mul_f32_e32 v2, v27, v29
	v_mul_f32_e32 v3, v26, v29
	s_waitcnt vmcnt(9)
	v_mul_f32_e32 v4, v9, v31
	v_mul_f32_e32 v5, v8, v31
	v_fmac_f32_e32 v2, v26, v28
	v_fma_f32 v3, v27, v28, -v3
	v_fmac_f32_e32 v4, v8, v30
	v_fma_f32 v5, v9, v30, -v5
	ds_write2_b64 v6, v[2:3], v[4:5] offset0:96 offset1:152
	s_waitcnt vmcnt(8)
	v_mul_f32_e32 v2, v17, v33
	v_mul_f32_e32 v3, v16, v33
	s_waitcnt vmcnt(6)
	v_mul_f32_e32 v4, v35, v37
	v_mul_f32_e32 v5, v34, v37
	v_fmac_f32_e32 v2, v16, v32
	v_fma_f32 v3, v17, v32, -v3
	v_fmac_f32_e32 v4, v34, v36
	v_fma_f32 v5, v35, v36, -v5
	v_add_u32_e32 v6, 0x800, v46
	ds_write2_b64 v6, v[2:3], v[4:5] offset0:80 offset1:136
	s_waitcnt vmcnt(3)
	v_mul_f32_e32 v2, v1, v41
	v_fmac_f32_e32 v2, v0, v40
	v_mul_f32_e32 v0, v0, v41
	v_fma_f32 v3, v1, v40, -v0
	s_waitcnt vmcnt(2)
	v_mul_f32_e32 v0, v39, v43
	v_mul_f32_e32 v1, v38, v43
	v_fmac_f32_e32 v0, v38, v42
	v_fma_f32 v1, v39, v42, -v1
	ds_write2_b64 v6, v[2:3], v[0:1] offset0:192 offset1:248
	s_waitcnt vmcnt(0)
	v_mul_f32_e32 v0, v51, v45
	v_mul_f32_e32 v1, v50, v45
	v_fmac_f32_e32 v0, v50, v44
	v_fma_f32 v1, v51, v44, -v1
	ds_write_b64 v46, v[0:1] offset:4480
.LBB0_3:
	s_or_b64 exec, exec, s[2:3]
	s_load_dwordx2 s[2:3], s[0:1], 0x20
	s_load_dwordx2 s[14:15], s[0:1], 0x8
	v_mov_b64_e32 v[0:1], 0
	s_waitcnt lgkmcnt(0)
	s_barrier
	s_waitcnt lgkmcnt(0)
                                        ; implicit-def: $vgpr16
                                        ; implicit-def: $vgpr10
                                        ; implicit-def: $vgpr4
                                        ; implicit-def: $vgpr22
                                        ; implicit-def: $vgpr32
	s_and_saveexec_b64 s[0:1], s[6:7]
	s_cbranch_execz .LBB0_5
; %bb.4:
	v_add_u32_e32 v4, 0x400, v46
	ds_read2_b64 v[0:3], v46 offset1:56
	ds_read2_b64 v[20:23], v46 offset0:112 offset1:168
	ds_read2_b64 v[8:11], v4 offset0:96 offset1:152
	v_add_u32_e32 v4, 0x800, v46
	ds_read2_b64 v[16:19], v4 offset0:80 offset1:136
	ds_read2_b64 v[4:7], v4 offset0:192 offset1:248
	ds_read_b64 v[32:33], v46 offset:4480
.LBB0_5:
	s_or_b64 exec, exec, s[0:1]
	s_waitcnt lgkmcnt(0)
	v_pk_add_f32 v[52:53], v[2:3], v[32:33] neg_lo:[0,1] neg_hi:[0,1]
	s_mov_b32 s28, 0xbf68dda4
	v_pk_add_f32 v[30:31], v[32:33], v[2:3]
	v_pk_add_f32 v[54:55], v[20:21], v[6:7] neg_lo:[0,1] neg_hi:[0,1]
	s_mov_b32 s0, 0x3ed4b147
	v_pk_mul_f32 v[12:13], v[52:53], s[28:29] op_sel:[1,0] op_sel_hi:[0,0]
	s_mov_b32 s20, 0xbf4178ce
	v_pk_add_f32 v[26:27], v[6:7], v[20:21]
	v_pk_fma_f32 v[40:41], v[30:31], s[0:1], v[12:13] op_sel_hi:[1,0,1]
	v_pk_fma_f32 v[42:43], v[30:31], s[0:1], v[12:13] op_sel_hi:[1,0,1] neg_lo:[0,0,1] neg_hi:[0,0,1]
	s_mov_b32 s10, 0xbf27a4f4
	v_pk_mul_f32 v[28:29], v[54:55], s[20:21] op_sel:[1,0] op_sel_hi:[0,0]
	v_mov_b32_e32 v12, v40
	v_mov_b32_e32 v13, v43
	s_mov_b32 s8, 0xbf7d64f0
	v_pk_fma_f32 v[62:63], v[26:27], s[10:11], v[28:29] op_sel_hi:[1,0,1]
	v_pk_fma_f32 v[64:65], v[26:27], s[10:11], v[28:29] op_sel_hi:[1,0,1] neg_lo:[0,0,1] neg_hi:[0,0,1]
	v_pk_add_f32 v[12:13], v[12:13], v[0:1]
	s_mov_b32 s4, 0xbe11bafb
	v_pk_mul_f32 v[14:15], v[52:53], s[8:9] op_sel:[1,0] op_sel_hi:[0,0]
	v_mov_b32_e32 v28, v62
	v_mov_b32_e32 v29, v65
	s_mov_b32 s22, 0x3e903f40
	v_pk_fma_f32 v[36:37], v[30:31], s[4:5], v[14:15] op_sel_hi:[1,0,1]
	v_pk_fma_f32 v[38:39], v[30:31], s[4:5], v[14:15] op_sel_hi:[1,0,1] neg_lo:[0,0,1] neg_hi:[0,0,1]
	v_pk_add_f32 v[12:13], v[28:29], v[12:13]
	s_mov_b32 s18, 0xbf75a155
	v_pk_mul_f32 v[28:29], v[54:55], s[22:23] op_sel:[1,0] op_sel_hi:[0,0]
	v_mov_b32_e32 v14, v36
	v_mov_b32_e32 v15, v39
	v_pk_fma_f32 v[58:59], v[26:27], s[18:19], v[28:29] op_sel_hi:[1,0,1]
	v_pk_fma_f32 v[60:61], v[26:27], s[18:19], v[28:29] op_sel_hi:[1,0,1] neg_lo:[0,0,1] neg_hi:[0,0,1]
	v_pk_add_f32 v[56:57], v[22:23], v[4:5] neg_lo:[0,1] neg_hi:[0,1]
	v_pk_add_f32 v[14:15], v[14:15], v[0:1]
	v_mov_b32_e32 v28, v58
	v_mov_b32_e32 v29, v61
	v_pk_add_f32 v[24:25], v[4:5], v[22:23]
	v_pk_add_f32 v[14:15], v[28:29], v[14:15]
	v_pk_mul_f32 v[28:29], v[56:57], s[22:23] op_sel:[1,0] op_sel_hi:[0,0]
	v_pk_fma_f32 v[70:71], v[24:25], s[18:19], v[28:29] op_sel_hi:[1,0,1]
	v_pk_fma_f32 v[72:73], v[24:25], s[18:19], v[28:29] op_sel_hi:[1,0,1] neg_lo:[0,0,1] neg_hi:[0,0,1]
	v_mov_b32_e32 v28, v70
	v_mov_b32_e32 v29, v73
	s_mov_b32 s22, 0x3f68dda4
	v_pk_add_f32 v[12:13], v[28:29], v[12:13]
	v_pk_mul_f32 v[28:29], v[56:57], s[22:23] op_sel:[1,0] op_sel_hi:[0,0]
	v_pk_fma_f32 v[66:67], v[24:25], s[0:1], v[28:29] op_sel_hi:[1,0,1]
	v_pk_fma_f32 v[68:69], v[24:25], s[0:1], v[28:29] op_sel_hi:[1,0,1] neg_lo:[0,0,1] neg_hi:[0,0,1]
	v_mov_b32_e32 v28, v66
	v_mov_b32_e32 v29, v69
	s_mov_b32 s34, 0x3f7d64f0
	v_pk_add_f32 v[90:91], v[8:9], v[18:19] neg_lo:[0,1] neg_hi:[0,1]
	v_pk_add_f32 v[14:15], v[28:29], v[14:15]
	v_pk_add_f32 v[34:35], v[18:19], v[8:9]
	v_pk_mul_f32 v[28:29], v[90:91], s[34:35] op_sel:[1,0] op_sel_hi:[0,0]
	v_pk_fma_f32 v[78:79], v[34:35], s[4:5], v[28:29] op_sel_hi:[1,0,1]
	v_pk_fma_f32 v[80:81], v[34:35], s[4:5], v[28:29] op_sel_hi:[1,0,1] neg_lo:[0,0,1] neg_hi:[0,0,1]
	v_mov_b32_e32 v28, v78
	v_mov_b32_e32 v29, v81
	s_mov_b32 s36, 0xbf0a6770
	v_pk_add_f32 v[12:13], v[28:29], v[12:13]
	s_mov_b32 s24, 0x3f575c64
	v_pk_mul_f32 v[28:29], v[90:91], s[36:37] op_sel:[1,0] op_sel_hi:[0,0]
	v_pk_fma_f32 v[74:75], v[34:35], s[24:25], v[28:29] op_sel_hi:[1,0,1]
	v_pk_fma_f32 v[76:77], v[34:35], s[24:25], v[28:29] op_sel_hi:[1,0,1] neg_lo:[0,0,1] neg_hi:[0,0,1]
	v_mov_b32_e32 v28, v74
	v_mov_b32_e32 v29, v77
	s_mov_b32 s26, 0x3f0a6770
	v_pk_add_f32 v[112:113], v[10:11], v[16:17] neg_lo:[0,1] neg_hi:[0,1]
	v_pk_add_f32 v[28:29], v[28:29], v[14:15]
	v_pk_add_f32 v[44:45], v[16:17], v[10:11]
	v_pk_mul_f32 v[14:15], v[112:113], s[26:27] op_sel:[1,0] op_sel_hi:[0,0]
	v_pk_fma_f32 v[86:87], v[44:45], s[24:25], v[14:15] op_sel_hi:[1,0,1]
	v_pk_fma_f32 v[88:89], v[44:45], s[24:25], v[14:15] op_sel_hi:[1,0,1] neg_lo:[0,0,1] neg_hi:[0,0,1]
	v_mov_b32_e32 v14, v86
	v_mov_b32_e32 v15, v89
	v_pk_add_f32 v[14:15], v[14:15], v[12:13]
	v_pk_mul_f32 v[12:13], v[112:113], s[20:21] op_sel:[1,0] op_sel_hi:[0,0]
	v_pk_fma_f32 v[82:83], v[44:45], s[10:11], v[12:13] op_sel_hi:[1,0,1]
	v_pk_fma_f32 v[84:85], v[44:45], s[10:11], v[12:13] op_sel_hi:[1,0,1] neg_lo:[0,0,1] neg_hi:[0,0,1]
	v_mov_b32_e32 v12, v82
	v_mov_b32_e32 v13, v85
	v_pk_add_f32 v[12:13], v[12:13], v[28:29]
	v_pk_mul_f32 v[28:29], v[52:53], s[36:37] op_sel:[1,0] op_sel_hi:[0,0]
	v_pk_fma_f32 v[114:115], v[30:31], s[24:25], v[28:29] op_sel_hi:[1,0,1]
	v_pk_fma_f32 v[116:117], v[30:31], s[24:25], v[28:29] op_sel_hi:[1,0,1] neg_lo:[0,0,1] neg_hi:[0,0,1]
	v_pk_mul_f32 v[50:51], v[54:55], s[28:29] op_sel:[1,0] op_sel_hi:[0,0]
	v_mov_b32_e32 v28, v114
	v_mov_b32_e32 v29, v117
	v_pk_fma_f32 v[118:119], v[26:27], s[0:1], v[50:51] op_sel_hi:[1,0,1]
	v_pk_fma_f32 v[120:121], v[26:27], s[0:1], v[50:51] op_sel_hi:[1,0,1] neg_lo:[0,0,1] neg_hi:[0,0,1]
	v_pk_add_f32 v[28:29], v[28:29], v[0:1]
	v_mov_b32_e32 v50, v118
	v_mov_b32_e32 v51, v121
	v_pk_add_f32 v[28:29], v[50:51], v[28:29]
	v_pk_mul_f32 v[50:51], v[56:57], s[8:9] op_sel:[1,0] op_sel_hi:[0,0]
	v_pk_fma_f32 v[122:123], v[24:25], s[4:5], v[50:51] op_sel_hi:[1,0,1]
	v_pk_fma_f32 v[124:125], v[24:25], s[4:5], v[50:51] op_sel_hi:[1,0,1] neg_lo:[0,0,1] neg_hi:[0,0,1]
	v_mov_b32_e32 v50, v122
	v_mov_b32_e32 v51, v125
	v_pk_add_f32 v[28:29], v[50:51], v[28:29]
	v_pk_mul_f32 v[50:51], v[90:91], s[20:21] op_sel:[1,0] op_sel_hi:[0,0]
	v_pk_fma_f32 v[126:127], v[34:35], s[10:11], v[50:51] op_sel_hi:[1,0,1]
	v_pk_fma_f32 v[128:129], v[34:35], s[10:11], v[50:51] op_sel_hi:[1,0,1] neg_lo:[0,0,1] neg_hi:[0,0,1]
	v_mov_b32_e32 v50, v126
	v_mov_b32_e32 v51, v129
	s_mov_b32 s30, 0xbe903f40
	v_pk_add_f32 v[28:29], v[50:51], v[28:29]
	v_pk_mul_f32 v[50:51], v[112:113], s[30:31] op_sel:[1,0] op_sel_hi:[0,0]
	v_pk_fma_f32 v[130:131], v[44:45], s[18:19], v[50:51] op_sel_hi:[1,0,1]
	v_pk_fma_f32 v[132:133], v[44:45], s[18:19], v[50:51] op_sel_hi:[1,0,1] neg_lo:[0,0,1] neg_hi:[0,0,1]
	v_mov_b32_e32 v50, v130
	v_mov_b32_e32 v51, v133
	v_pk_add_f32 v[50:51], v[50:51], v[28:29]
	v_pk_mul_f32 v[28:29], v[52:53], s[20:21] op_sel:[1,0] op_sel_hi:[0,0]
	v_pk_fma_f32 v[92:93], v[30:31], s[10:11], v[28:29] op_sel_hi:[1,0,1]
	v_pk_fma_f32 v[94:95], v[30:31], s[10:11], v[28:29] op_sel_hi:[1,0,1] neg_lo:[0,0,1] neg_hi:[0,0,1]
	v_pk_mul_f32 v[98:99], v[54:55], s[34:35] op_sel:[1,0] op_sel_hi:[0,0]
	v_mov_b32_e32 v28, v92
	v_mov_b32_e32 v29, v95
	v_pk_fma_f32 v[96:97], v[26:27], s[4:5], v[98:99] op_sel_hi:[1,0,1]
	v_pk_fma_f32 v[98:99], v[26:27], s[4:5], v[98:99] op_sel_hi:[1,0,1] neg_lo:[0,0,1] neg_hi:[0,0,1]
	v_mov_b32_e32 v100, v96
	v_mov_b32_e32 v101, v99
	v_pk_add_f32 v[28:29], v[28:29], v[0:1]
	v_pk_mul_f32 v[102:103], v[56:57], s[36:37] op_sel:[1,0] op_sel_hi:[0,0]
	v_pk_add_f32 v[28:29], v[100:101], v[28:29]
	v_pk_fma_f32 v[100:101], v[24:25], s[24:25], v[102:103] op_sel_hi:[1,0,1]
	v_pk_fma_f32 v[102:103], v[24:25], s[24:25], v[102:103] op_sel_hi:[1,0,1] neg_lo:[0,0,1] neg_hi:[0,0,1]
	v_mov_b32_e32 v104, v100
	v_mov_b32_e32 v105, v103
	v_pk_mul_f32 v[106:107], v[90:91], s[30:31] op_sel:[1,0] op_sel_hi:[0,0]
	v_pk_add_f32 v[28:29], v[104:105], v[28:29]
	v_pk_fma_f32 v[104:105], v[34:35], s[18:19], v[106:107] op_sel_hi:[1,0,1]
	v_pk_fma_f32 v[106:107], v[34:35], s[18:19], v[106:107] op_sel_hi:[1,0,1] neg_lo:[0,0,1] neg_hi:[0,0,1]
	v_mov_b32_e32 v108, v104
	v_mov_b32_e32 v109, v107
	;; [unrolled: 6-line block ×3, first 2 shown]
	v_pk_add_f32 v[28:29], v[134:135], v[28:29]
	v_mul_lo_u16_e32 v96, 11, v49
	s_barrier
	s_and_saveexec_b64 s[28:29], s[6:7]
	s_cbranch_execz .LBB0_7
; %bb.6:
	v_pk_add_f32 v[2:3], v[2:3], v[0:1]
	v_mov_b32_e32 v117, v115
	v_pk_add_f32 v[2:3], v[20:21], v[2:3]
	v_mov_b32_e32 v121, v119
	;; [unrolled: 2-line block ×5, first 2 shown]
	v_pk_add_f32 v[2:3], v[16:17], v[2:3]
	v_lshlrev_b32_e32 v36, 3, v96
	v_pk_add_f32 v[2:3], v[18:19], v[2:3]
	v_mov_b32_e32 v43, v41
	v_pk_add_f32 v[2:3], v[4:5], v[2:3]
	v_pk_add_f32 v[4:5], v[116:117], v[0:1]
	;; [unrolled: 1-line block ×6, first 2 shown]
	v_mov_b32_e32 v39, v37
	v_pk_add_f32 v[4:5], v[128:129], v[4:5]
	v_mov_b32_e32 v65, v63
	v_pk_add_f32 v[4:5], v[132:133], v[4:5]
	ds_write2_b64 v36, v[2:3], v[4:5] offset1:1
	v_pk_add_f32 v[2:3], v[42:43], v[0:1]
	v_pk_add_f32 v[4:5], v[38:39], v[0:1]
	v_mov_b32_e32 v61, v59
	v_pk_add_f32 v[2:3], v[64:65], v[2:3]
	v_mov_b32_e32 v73, v71
	;; [unrolled: 2-line block ×7, first 2 shown]
	v_mov_b32_e32 v8, v53
	v_mov_b32_e32 v9, v52
	v_pk_add_f32 v[2:3], v[88:89], v[2:3]
	v_pk_add_f32 v[4:5], v[84:85], v[4:5]
	v_mov_b32_e32 v10, v55
	v_mov_b32_e32 v11, v54
	;; [unrolled: 1-line block ×4, first 2 shown]
	ds_write2_b64 v36, v[2:3], v[4:5] offset0:2 offset1:3
	v_pk_mul_f32 v[4:5], v[8:9], s[30:31] op_sel_hi:[1,0]
	v_mov_b32_e32 v16, v57
	v_mov_b32_e32 v17, v56
	;; [unrolled: 1-line block ×4, first 2 shown]
	v_pk_mul_f32 v[6:7], v[10:11], s[26:27] op_sel_hi:[1,0]
	v_pk_mul_f32 v[10:11], v[18:19], s[22:23] op_sel_hi:[1,0]
	v_pk_fma_f32 v[18:19], v[30:31], s[18:19], v[4:5] op_sel_hi:[1,0,1] neg_lo:[0,0,1] neg_hi:[0,0,1]
	v_pk_fma_f32 v[4:5], v[30:31], s[18:19], v[4:5] op_sel_hi:[1,0,1]
	v_pk_mul_f32 v[8:9], v[16:17], s[20:21] op_sel_hi:[1,0]
	v_pk_mul_f32 v[16:17], v[20:21], s[8:9] op_sel_hi:[1,0]
	v_mov_b32_e32 v20, v18
	v_mov_b32_e32 v21, v5
	v_pk_fma_f32 v[22:23], v[26:27], s[24:25], v[6:7] op_sel_hi:[1,0,1] neg_lo:[0,0,1] neg_hi:[0,0,1]
	v_pk_fma_f32 v[6:7], v[26:27], s[24:25], v[6:7] op_sel_hi:[1,0,1]
	v_pk_add_f32 v[20:21], v[20:21], v[0:1]
	v_mov_b32_e32 v26, v22
	v_mov_b32_e32 v27, v7
	v_pk_add_f32 v[20:21], v[26:27], v[20:21]
	v_pk_fma_f32 v[26:27], v[24:25], s[10:11], v[8:9] op_sel_hi:[1,0,1] neg_lo:[0,0,1] neg_hi:[0,0,1]
	v_pk_fma_f32 v[8:9], v[24:25], s[10:11], v[8:9] op_sel_hi:[1,0,1]
	v_mov_b32_e32 v95, v93
	v_mov_b32_e32 v24, v26
	v_mov_b32_e32 v25, v9
	v_mov_b32_e32 v5, v19
	v_pk_add_f32 v[2:3], v[94:95], v[0:1]
	v_mov_b32_e32 v99, v97
	v_pk_add_f32 v[20:21], v[24:25], v[20:21]
	v_pk_fma_f32 v[24:25], v[34:35], s[0:1], v[10:11] op_sel_hi:[1,0,1] neg_lo:[0,0,1] neg_hi:[0,0,1]
	v_pk_fma_f32 v[10:11], v[34:35], s[0:1], v[10:11] op_sel_hi:[1,0,1]
	v_pk_add_f32 v[0:1], v[4:5], v[0:1]
	v_mov_b32_e32 v7, v23
	v_pk_add_f32 v[2:3], v[98:99], v[2:3]
	v_mov_b32_e32 v103, v101
	v_mov_b32_e32 v30, v24
	;; [unrolled: 1-line block ×3, first 2 shown]
	v_pk_add_f32 v[0:1], v[6:7], v[0:1]
	v_mov_b32_e32 v9, v27
	v_pk_add_f32 v[2:3], v[102:103], v[2:3]
	v_mov_b32_e32 v107, v105
	v_pk_add_f32 v[20:21], v[30:31], v[20:21]
	v_pk_fma_f32 v[30:31], v[44:45], s[4:5], v[16:17] op_sel_hi:[1,0,1] neg_lo:[0,0,1] neg_hi:[0,0,1]
	v_pk_fma_f32 v[16:17], v[44:45], s[4:5], v[16:17] op_sel_hi:[1,0,1]
	v_pk_add_f32 v[0:1], v[8:9], v[0:1]
	v_mov_b32_e32 v11, v25
	v_pk_add_f32 v[2:3], v[106:107], v[2:3]
	v_mov_b32_e32 v111, v109
	v_mov_b32_e32 v32, v30
	;; [unrolled: 1-line block ×3, first 2 shown]
	v_pk_add_f32 v[0:1], v[10:11], v[0:1]
	v_mov_b32_e32 v17, v31
	v_pk_add_f32 v[2:3], v[110:111], v[2:3]
	v_pk_add_f32 v[20:21], v[32:33], v[20:21]
	;; [unrolled: 1-line block ×3, first 2 shown]
	ds_write2_b64 v36, v[2:3], v[20:21] offset0:4 offset1:5
	ds_write2_b64 v36, v[0:1], v[28:29] offset0:6 offset1:7
	;; [unrolled: 1-line block ×3, first 2 shown]
	ds_write_b64 v36, v[50:51] offset:80
.LBB0_7:
	s_or_b64 exec, exec, s[28:29]
	s_movk_i32 s0, 0x75
	v_mul_lo_u16_sdwa v0, v49, s0 dst_sel:DWORD dst_unused:UNUSED_PAD src0_sel:BYTE_0 src1_sel:DWORD
	v_sub_u16_sdwa v1, v49, v0 dst_sel:DWORD dst_unused:UNUSED_PAD src0_sel:DWORD src1_sel:BYTE_1
	v_lshrrev_b16_e32 v1, 1, v1
	v_and_b32_e32 v1, 0x7f, v1
	v_add_u16_sdwa v0, v1, v0 dst_sel:DWORD dst_unused:UNUSED_PAD src0_sel:DWORD src1_sel:BYTE_1
	v_lshrrev_b16_e32 v47, 3, v0
	v_mul_lo_u16_e32 v0, 11, v47
	v_sub_u16_e32 v0, v49, v0
	v_and_b32_e32 v62, 0xff, v0
	v_mul_u32_u24_e32 v0, 6, v62
	v_lshlrev_b32_e32 v16, 3, v0
	s_load_dwordx4 s[8:11], s[2:3], 0x0
	s_waitcnt lgkmcnt(0)
	s_barrier
	global_load_dwordx4 v[8:11], v16, s[14:15] offset:16
	global_load_dwordx4 v[4:7], v16, s[14:15]
	global_load_dwordx4 v[0:3], v16, s[14:15] offset:32
	v_add_u32_e32 v20, 0x400, v46
	v_add_u32_e32 v24, 0x800, v46
	ds_read2_b64 v[16:19], v46 offset1:88
	ds_read2_b64 v[20:23], v20 offset0:48 offset1:136
	ds_read2_b64 v[24:27], v24 offset0:96 offset1:184
	ds_read_b64 v[30:31], v46 offset:4224
	s_mov_b32 s2, 0x3f3bfb3b
	s_mov_b32 s4, 0x3eae86e6
	;; [unrolled: 1-line block ×8, first 2 shown]
	s_waitcnt lgkmcnt(0)
	s_barrier
	s_waitcnt vmcnt(2)
	v_pk_mul_f32 v[32:33], v[22:23], v[8:9] op_sel:[0,1]
	v_mov_b32_e32 v34, v11
	s_waitcnt vmcnt(1)
	v_pk_mul_f32 v[36:37], v[18:19], v[4:5] op_sel:[0,1]
	v_mov_b32_e32 v38, v7
	;; [unrolled: 3-line block ×3, first 2 shown]
	v_pk_fma_f32 v[44:45], v[22:23], v[8:9], v[32:33] op_sel:[0,0,1] op_sel_hi:[1,1,0] neg_lo:[0,0,1] neg_hi:[0,0,1]
	v_pk_fma_f32 v[22:23], v[22:23], v[8:9], v[32:33] op_sel:[0,0,1] op_sel_hi:[1,0,0]
	v_pk_mul_f32 v[32:33], v[24:25], v[34:35] op_sel_hi:[1,0]
	v_pk_fma_f32 v[34:35], v[18:19], v[4:5], v[36:37] op_sel:[0,0,1] op_sel_hi:[1,1,0] neg_lo:[0,0,1] neg_hi:[0,0,1]
	v_pk_fma_f32 v[18:19], v[18:19], v[4:5], v[36:37] op_sel:[0,0,1] op_sel_hi:[1,0,0]
	v_pk_mul_f32 v[36:37], v[20:21], v[38:39] op_sel_hi:[1,0]
	;; [unrolled: 3-line block ×3, first 2 shown]
	v_pk_fma_f32 v[42:43], v[24:25], v[10:11], v[32:33] op_sel:[0,0,1] op_sel_hi:[1,1,0] neg_lo:[0,0,1] neg_hi:[0,0,1]
	v_pk_fma_f32 v[24:25], v[24:25], v[10:11], v[32:33] op_sel:[0,0,1] op_sel_hi:[1,0,0]
	v_pk_fma_f32 v[32:33], v[20:21], v[6:7], v[36:37] op_sel:[0,0,1] op_sel_hi:[1,1,0] neg_lo:[0,0,1] neg_hi:[0,0,1]
	v_pk_fma_f32 v[20:21], v[20:21], v[6:7], v[36:37] op_sel:[0,0,1] op_sel_hi:[1,0,0]
	;; [unrolled: 2-line block ×3, first 2 shown]
	v_mov_b32_e32 v35, v19
	v_mov_b32_e32 v18, v19
	;; [unrolled: 1-line block ×12, first 2 shown]
	v_pk_add_f32 v[26:27], v[34:35], v[36:37]
	v_pk_add_f32 v[18:19], v[18:19], v[40:41]
	v_pk_add_f32 v[20:21], v[52:53], v[20:21]
	v_mov_b32_e32 v45, v23
	v_mov_b32_e32 v22, v23
	;; [unrolled: 1-line block ×6, first 2 shown]
	v_pk_add_f32 v[30:31], v[20:21], v[18:19]
	v_pk_add_f32 v[34:35], v[34:35], v[36:37] neg_lo:[0,1] neg_hi:[0,1]
	v_pk_add_f32 v[32:33], v[32:33], v[38:39] neg_lo:[0,1] neg_hi:[0,1]
	;; [unrolled: 1-line block ×3, first 2 shown]
	v_pk_add_f32 v[22:23], v[22:23], v[24:25]
	v_mov_b32_e32 v31, v21
	v_pk_add_f32 v[40:41], v[36:37], v[32:33]
	v_pk_add_f32 v[54:55], v[30:31], v[22:23]
	v_sub_f32_e32 v27, v26, v21
	v_pk_add_f32 v[38:39], v[20:21], v[18:19] neg_lo:[0,1] neg_hi:[0,1]
	v_mov_b32_e32 v42, v34
	v_mov_b32_e32 v43, v37
	;; [unrolled: 1-line block ×4, first 2 shown]
	v_pk_add_f32 v[52:53], v[32:33], v[34:35] neg_lo:[0,1] neg_hi:[0,1]
	v_pk_add_f32 v[40:41], v[40:41], v[34:35]
	v_pk_add_f32 v[30:31], v[16:17], v[54:55] op_sel:[0,1] op_sel_hi:[1,0]
	v_mov_b32_e32 v23, v19
	v_mov_b32_e32 v21, v26
	;; [unrolled: 1-line block ×4, first 2 shown]
	v_pk_add_f32 v[24:25], v[42:43], v[44:45] neg_lo:[0,1] neg_hi:[0,1]
	v_sub_f32_e32 v18, v18, v22
	v_pk_fma_f32 v[54:55], v[54:55], s[18:19], v[30:31] op_sel:[0,0,1] op_sel_hi:[1,0,0]
	v_pk_add_f32 v[20:21], v[22:23], v[20:21] neg_lo:[0,1] neg_hi:[0,1]
	v_pk_add_f32 v[22:23], v[34:35], v[32:33] neg_lo:[0,1] neg_hi:[0,1]
	s_mov_b32 s18, s3
	s_mov_b32 s19, s2
	v_mul_f32_e32 v27, 0x3f4a47b2, v27
	v_pk_mul_f32 v[42:43], v[38:39], s[2:3]
	v_mul_f32_e32 v44, 0x3f5ff5aa, v52
	v_pk_mul_f32 v[58:59], v[24:25], s[4:5]
	;; [unrolled: 2-line block ×3, first 2 shown]
	v_pk_mul_f32 v[34:35], v[22:23], s[20:21]
	v_mul_f32_e32 v53, 0x3f5ff5aa, v53
	v_pk_mul_f32 v[56:57], v[40:41], s[0:1] op_sel_hi:[1,0]
	v_xor_b32_e32 v61, 0x80000000, v27
	v_xor_b32_e32 v18, 0x80000000, v17
	;; [unrolled: 1-line block ×3, first 2 shown]
	v_mov_b32_e32 v60, v42
	v_mov_b32_e32 v19, v33
	;; [unrolled: 1-line block ×5, first 2 shown]
	v_xor_b32_e32 v45, 0x80000000, v53
	v_pk_fma_f32 v[24:25], v[24:25], s[4:5], v[52:53] neg_lo:[1,0,0] neg_hi:[1,0,0]
	v_pk_fma_f32 v[20:21], v[20:21], s[18:19], v[60:61] neg_lo:[1,0,0] neg_hi:[1,0,0]
	;; [unrolled: 1-line block ×3, first 2 shown]
	v_pk_add_f32 v[16:17], v[36:37], v[16:17]
	v_mov_b32_e32 v32, v56
	v_mov_b32_e32 v33, v54
	v_mov_b32_e32 v42, v59
	v_mov_b32_e32 v26, v35
	v_pk_fma_f32 v[24:25], v[40:41], s[0:1], v[24:25] op_sel_hi:[1,0,1]
	v_pk_fma_f32 v[22:23], v[22:23], s[20:21], v[44:45] neg_lo:[1,0,0] neg_hi:[1,0,0]
	v_pk_add_f32 v[20:21], v[20:21], v[54:55]
	v_pk_add_f32 v[18:19], v[18:19], v[54:55]
	;; [unrolled: 1-line block ×4, first 2 shown]
	v_mov_b32_e32 v54, v57
	v_pk_add_f32 v[26:27], v[54:55], v[26:27]
	v_pk_fma_f32 v[22:23], v[40:41], s[0:1], v[22:23] op_sel_hi:[1,0,1]
	v_mov_b32_e32 v34, v17
	v_mov_b32_e32 v35, v18
	;; [unrolled: 1-line block ×4, first 2 shown]
	v_pk_add_f32 v[34:35], v[34:35], v[36:37] neg_lo:[0,1] neg_hi:[0,1]
	v_pk_add_f32 v[44:45], v[22:23], v[20:21]
	v_mov_b32_e32 v36, v19
	v_mov_b32_e32 v37, v20
	v_pk_add_f32 v[42:43], v[24:25], v[18:19]
	v_mov_b32_e32 v18, v21
	v_mov_b32_e32 v19, v27
	v_mov_b32_e32 v20, v23
	v_mov_b32_e32 v21, v26
	v_mov_b32_e32 v38, v25
	v_mov_b32_e32 v39, v22
	v_pk_add_f32 v[40:41], v[18:19], v[20:21] neg_lo:[0,1] neg_hi:[0,1]
	v_mov_b32_e32 v18, v17
	v_pk_add_f32 v[36:37], v[36:37], v[38:39] neg_lo:[0,1] neg_hi:[0,1]
	v_pk_add_f32 v[38:39], v[16:17], v[18:19]
	v_mul_u32_u24_e32 v16, 0x4d, v47
	v_mov_b32_e32 v32, v27
	s_movk_i32 s0, 0x4d
	v_add_lshl_u32 v94, v16, v62, 3
	v_mov_b32_e32 v16, v45
	v_mov_b32_e32 v17, v35
	;; [unrolled: 1-line block ×4, first 2 shown]
	v_pk_add_f32 v[32:33], v[26:27], v[32:33]
	ds_write2_b64 v94, v[16:17], v[18:19] offset0:22 offset1:33
	v_mov_b32_e32 v16, v43
	v_mov_b32_e32 v17, v37
	;; [unrolled: 1-line block ×4, first 2 shown]
	v_cmp_gt_u16_e64 s[2:3], s0, v49
	s_movk_i32 s0, 0x4c
	v_mov_b32_e32 v33, v34
	ds_write2_b64 v94, v[16:17], v[18:19] offset0:44 offset1:55
	v_mov_b32_e32 v16, v41
	v_mov_b32_e32 v17, v38
	v_cmp_lt_u16_e64 s[4:5], s0, v49
	ds_write2_b64 v94, v[30:31], v[32:33] offset1:11
	ds_write_b64 v94, v[16:17] offset:528
	s_waitcnt lgkmcnt(0)
	s_barrier
	s_and_saveexec_b64 s[0:1], s[4:5]
	s_xor_b64 s[0:1], exec, s[0:1]
	s_andn2_saveexec_b64 s[0:1], s[0:1]
	s_cbranch_execz .LBB0_9
; %bb.8:
	v_add_u32_e32 v16, 0x800, v46
	ds_read2_b64 v[38:41], v16 offset0:52 offset1:129
	ds_read2_b64 v[30:33], v46 offset1:77
	ds_read2_b64 v[34:37], v46 offset0:154 offset1:231
	v_add_u32_e32 v16, 0xc00, v46
	ds_read2_b64 v[26:29], v16 offset0:78 offset1:155
	s_waitcnt lgkmcnt(3)
	v_mov_b32_e32 v42, v41
	v_mov_b32_e32 v43, v38
	s_waitcnt lgkmcnt(1)
	v_mov_b32_e32 v44, v37
	v_mov_b32_e32 v45, v34
	;; [unrolled: 3-line block ×3, first 2 shown]
	v_mov_b32_e32 v34, v33
	v_mov_b32_e32 v38, v27
.LBB0_9:
	s_or_b64 exec, exec, s[0:1]
	v_add_u32_e32 v16, 0xffffffb3, v49
	v_cndmask_b32_e64 v16, v16, v49, s[2:3]
	v_mul_hi_i32_i24_e32 v17, 56, v16
	v_mul_i32_i24_e32 v16, 56, v16
	v_lshl_add_u64 v[54:55], s[14:15], 0, v[16:17]
	global_load_dwordx4 v[20:23], v[54:55], off offset:528
	global_load_dwordx4 v[24:27], v[54:55], off offset:544
	;; [unrolled: 1-line block ×3, first 2 shown]
	global_load_dwordx2 v[52:53], v[54:55], off offset:576
	v_mov_b32_e32 v33, v36
	v_mov_b32_e32 v54, v34
	;; [unrolled: 1-line block ×14, first 2 shown]
	s_mov_b32 s0, 0x3f3504f3
	s_waitcnt vmcnt(3)
	v_mov_b32_e32 v68, v21
	s_waitcnt vmcnt(2)
	v_mov_b32_e32 v69, v25
	v_mov_b32_e32 v72, v25
	v_mov_b32_e32 v73, v21
	s_waitcnt vmcnt(1)
	v_mov_b32_e32 v76, v17
	s_waitcnt vmcnt(0)
	v_mov_b32_e32 v77, v53
	v_mov_b32_e32 v80, v53
	;; [unrolled: 1-line block ×3, first 2 shown]
	v_pk_mul_f32 v[44:45], v[44:45], v[22:23] op_sel:[1,0]
	v_pk_mul_f32 v[36:37], v[36:37], v[26:27] op_sel:[1,0]
	;; [unrolled: 1-line block ×3, first 2 shown]
	v_mov_b32_e32 v66, v20
	v_mov_b32_e32 v67, v24
	;; [unrolled: 1-line block ×8, first 2 shown]
	v_pk_mul_f32 v[54:55], v[54:55], v[68:69]
	v_pk_mul_f32 v[58:59], v[58:59], v[72:73]
	;; [unrolled: 1-line block ×4, first 2 shown]
	v_pk_fma_f32 v[68:69], v[34:35], v[22:23], v[44:45] op_sel:[1,0,1] op_sel_hi:[1,1,0]
	v_pk_fma_f32 v[34:35], v[34:35], v[22:23], v[44:45] op_sel:[1,0,1] op_sel_hi:[1,1,0] neg_lo:[1,0,0] neg_hi:[1,0,0]
	v_pk_fma_f32 v[44:45], v[42:43], v[26:27], v[36:37] op_sel:[1,0,1] op_sel_hi:[1,1,0] neg_lo:[0,0,1] neg_hi:[0,0,1]
	v_pk_fma_f32 v[36:37], v[42:43], v[26:27], v[36:37] op_sel:[1,0,1] op_sel_hi:[1,1,0]
	v_pk_fma_f32 v[42:43], v[38:39], v[18:19], v[40:41] op_sel:[0,0,1] op_sel_hi:[1,1,0]
	v_pk_fma_f32 v[38:39], v[38:39], v[18:19], v[40:41] op_sel:[0,0,1] op_sel_hi:[0,1,0] neg_lo:[1,0,0] neg_hi:[1,0,0]
	v_mov_b32_e32 v69, v35
	v_pk_fma_f32 v[32:33], v[32:33], v[66:67], v[54:55] neg_lo:[0,0,1] neg_hi:[0,0,1]
	v_pk_fma_f32 v[34:35], v[56:57], v[70:71], v[58:59]
	v_mov_b32_e32 v45, v37
	v_mov_b32_e32 v43, v39
	v_pk_fma_f32 v[36:37], v[60:61], v[74:75], v[62:63] neg_lo:[0,0,1] neg_hi:[0,0,1]
	v_pk_fma_f32 v[28:29], v[64:65], v[78:79], v[28:29]
	v_pk_add_f32 v[38:39], v[30:31], v[44:45] neg_lo:[0,1] neg_hi:[0,1]
	v_pk_add_f32 v[40:41], v[68:69], v[42:43] neg_lo:[0,1] neg_hi:[0,1]
	;; [unrolled: 1-line block ×4, first 2 shown]
	v_mov_b32_e32 v42, v32
	v_mov_b32_e32 v43, v35
	;; [unrolled: 1-line block ×4, first 2 shown]
	v_pk_add_f32 v[44:45], v[38:39], v[40:41] neg_lo:[0,1] neg_hi:[0,1]
	v_pk_add_f32 v[34:35], v[38:39], v[40:41]
	v_pk_add_f32 v[54:55], v[36:37], v[28:29] neg_lo:[0,1] neg_hi:[0,1]
	v_pk_add_f32 v[56:57], v[36:37], v[28:29]
	v_mov_b32_e32 v58, v36
	v_mov_b32_e32 v59, v29
	v_mov_b32_e32 v36, v37
	v_mov_b32_e32 v37, v28
	v_mov_b32_e32 v45, v35
	v_mov_b32_e32 v55, v57
	v_pk_fma_f32 v[30:31], v[30:31], 2.0, v[38:39] op_sel_hi:[1,0,1] neg_lo:[0,0,1] neg_hi:[0,0,1]
	v_pk_fma_f32 v[40:41], v[68:69], 2.0, v[40:41] op_sel_hi:[1,0,1] neg_lo:[0,0,1] neg_hi:[0,0,1]
	;; [unrolled: 1-line block ×6, first 2 shown]
	v_pk_add_f32 v[40:41], v[30:31], v[40:41] op_sel:[0,1] op_sel_hi:[1,0] neg_lo:[0,1] neg_hi:[0,1]
	v_pk_add_f32 v[32:33], v[28:29], v[32:33] neg_lo:[0,1] neg_hi:[0,1]
	v_pk_mul_f32 v[42:43], v[34:35], s[0:1] op_sel_hi:[1,0]
	v_pk_fma_f32 v[56:57], v[34:35], s[0:1], v[38:39] op_sel_hi:[1,0,1] neg_lo:[1,0,0] neg_hi:[1,0,0]
	v_pk_fma_f32 v[30:31], v[30:31], 2.0, v[40:41] op_sel_hi:[1,0,1] neg_lo:[0,0,1] neg_hi:[0,0,1]
	v_pk_fma_f32 v[28:29], v[28:29], 2.0, v[32:33] op_sel_hi:[1,0,1] neg_lo:[0,0,1] neg_hi:[0,0,1]
	v_pk_add_f32 v[36:37], v[56:57], v[42:43] op_sel:[0,1] op_sel_hi:[1,0] neg_lo:[0,1] neg_hi:[0,1]
	v_pk_add_f32 v[42:43], v[56:57], v[42:43] op_sel:[0,1] op_sel_hi:[1,0]
	v_pk_add_f32 v[34:35], v[30:31], v[28:29] neg_lo:[0,1] neg_hi:[0,1]
	v_mov_b32_e32 v37, v43
	v_pk_fma_f32 v[28:29], v[30:31], 2.0, v[34:35] op_sel_hi:[1,0,1] neg_lo:[0,0,1] neg_hi:[0,0,1]
	v_pk_fma_f32 v[30:31], v[38:39], 2.0, v[36:37] op_sel_hi:[1,0,1] neg_lo:[0,0,1] neg_hi:[0,0,1]
	v_pk_add_f32 v[38:39], v[40:41], v[32:33] op_sel:[0,1] op_sel_hi:[1,0] neg_lo:[0,1] neg_hi:[0,1]
	v_pk_add_f32 v[32:33], v[40:41], v[32:33] op_sel:[0,1] op_sel_hi:[1,0]
	s_nop 0
	v_mov_b32_e32 v39, v33
	v_pk_mul_f32 v[32:33], v[54:55], s[0:1] op_sel_hi:[1,0]
	v_pk_fma_f32 v[54:55], v[54:55], s[0:1], v[44:45] op_sel_hi:[1,0,1]
	v_pk_fma_f32 v[42:43], v[40:41], 2.0, v[38:39] op_sel_hi:[1,0,1] neg_lo:[0,0,1] neg_hi:[0,0,1]
	v_pk_add_f32 v[40:41], v[54:55], v[32:33] op_sel:[0,1] op_sel_hi:[1,0] neg_lo:[0,1] neg_hi:[0,1]
	v_pk_add_f32 v[32:33], v[54:55], v[32:33] op_sel:[0,1] op_sel_hi:[1,0]
	s_nop 0
	v_mov_b32_e32 v41, v33
	v_pk_fma_f32 v[44:45], v[44:45], 2.0, v[40:41] op_sel_hi:[1,0,1] neg_lo:[0,0,1] neg_hi:[0,0,1]
	s_and_saveexec_b64 s[0:1], s[2:3]
	s_cbranch_execz .LBB0_11
; %bb.10:
	v_add_u32_e32 v32, 0x800, v46
	ds_write2_b64 v46, v[28:29], v[30:31] offset1:77
	ds_write2_b64 v46, v[42:43], v[44:45] offset0:154 offset1:231
	ds_write2_b64 v32, v[34:35], v[36:37] offset0:52 offset1:129
	v_add_u32_e32 v32, 0xc00, v46
	ds_write2_b64 v32, v[38:39], v[40:41] offset0:78 offset1:155
.LBB0_11:
	s_or_b64 exec, exec, s[0:1]
	s_waitcnt lgkmcnt(0)
	s_barrier
	s_and_saveexec_b64 s[0:1], s[6:7]
	s_cbranch_execz .LBB0_13
; %bb.12:
	v_mov_b32_e32 v47, 0
	v_lshl_add_u64 v[32:33], s[12:13], 0, v[46:47]
	v_add_co_u32_e32 v54, vcc, 0x1000, v32
	s_mov_b64 s[14:15], 0x1340
	s_nop 0
	v_addc_co_u32_e32 v55, vcc, 0, v33, vcc
	global_load_dwordx2 v[54:55], v[54:55], off offset:832
	v_lshl_add_u64 v[56:57], v[32:33], 0, s[14:15]
	v_add_co_u32_e32 v32, vcc, 0x2000, v32
	global_load_dwordx2 v[74:75], v[56:57], off offset:448
	global_load_dwordx2 v[76:77], v[56:57], off offset:896
	;; [unrolled: 1-line block ×8, first 2 shown]
	v_addc_co_u32_e32 v33, vcc, 0, v33, vcc
	global_load_dwordx2 v[90:91], v[32:33], off offset:1216
	global_load_dwordx2 v[92:93], v[56:57], off offset:4032
	ds_read_b64 v[32:33], v46
	v_add_u32_e32 v47, 0x800, v46
	v_add_u32_e32 v95, 0xc00, v46
	s_waitcnt vmcnt(10) lgkmcnt(0)
	v_mul_f32_e32 v56, v33, v55
	v_mul_f32_e32 v57, v32, v55
	v_fma_f32 v56, v32, v54, -v56
	v_fmac_f32_e32 v57, v33, v54
	ds_write_b64 v46, v[56:57]
	ds_read2_b64 v[54:57], v46 offset0:56 offset1:112
	ds_read2_b64 v[58:61], v46 offset0:168 offset1:224
	;; [unrolled: 1-line block ×5, first 2 shown]
	s_waitcnt vmcnt(9) lgkmcnt(4)
	v_mul_f32_e32 v32, v55, v75
	v_mul_f32_e32 v33, v54, v75
	s_waitcnt vmcnt(8)
	v_mul_f32_e32 v97, v57, v77
	v_mul_f32_e32 v75, v56, v77
	s_waitcnt vmcnt(7) lgkmcnt(3)
	v_mul_f32_e32 v98, v59, v79
	v_mul_f32_e32 v77, v58, v79
	s_waitcnt vmcnt(6)
	v_mul_f32_e32 v99, v61, v81
	v_mul_f32_e32 v79, v60, v81
	;; [unrolled: 6-line block ×4, first 2 shown]
	s_waitcnt vmcnt(0) lgkmcnt(0)
	v_mul_f32_e32 v104, v71, v93
	v_mul_f32_e32 v89, v70, v93
	v_mul_f32_e32 v105, v73, v91
	v_mul_f32_e32 v93, v72, v91
	v_fma_f32 v32, v54, v74, -v32
	v_fmac_f32_e32 v33, v55, v74
	v_fma_f32 v74, v56, v76, -v97
	v_fmac_f32_e32 v75, v57, v76
	;; [unrolled: 2-line block ×10, first 2 shown]
	ds_write2_b64 v46, v[32:33], v[74:75] offset0:56 offset1:112
	ds_write2_b64 v46, v[76:77], v[78:79] offset0:168 offset1:224
	;; [unrolled: 1-line block ×5, first 2 shown]
.LBB0_13:
	s_or_b64 exec, exec, s[0:1]
	s_waitcnt lgkmcnt(0)
	s_barrier
	s_and_saveexec_b64 s[0:1], s[6:7]
	s_cbranch_execz .LBB0_15
; %bb.14:
	v_add_u32_e32 v12, 0x400, v46
	ds_read2_b64 v[28:31], v46 offset1:56
	ds_read2_b64 v[42:45], v46 offset0:112 offset1:168
	ds_read2_b64 v[34:37], v12 offset0:96 offset1:152
	v_add_u32_e32 v12, 0x800, v46
	ds_read2_b64 v[38:41], v12 offset0:80 offset1:136
	ds_read2_b64 v[12:15], v12 offset0:192 offset1:248
	ds_read_b64 v[50:51], v46 offset:4480
.LBB0_15:
	s_or_b64 exec, exec, s[0:1]
	s_waitcnt lgkmcnt(0)
	v_pk_add_f32 v[32:33], v[30:31], v[50:51] neg_lo:[0,1] neg_hi:[0,1]
	v_pk_add_f32 v[64:65], v[30:31], v[50:51]
	v_mov_b32_e32 v55, v32
	v_mov_b32_e32 v54, v64
	;; [unrolled: 1-line block ×3, first 2 shown]
	v_pk_add_f32 v[32:33], v[42:43], v[14:15] neg_lo:[0,1] neg_hi:[0,1]
	v_pk_add_f32 v[66:67], v[42:43], v[14:15]
	v_mov_b32_e32 v57, v32
	v_mov_b32_e32 v56, v66
	;; [unrolled: 1-line block ×3, first 2 shown]
	v_pk_add_f32 v[32:33], v[44:45], v[12:13] neg_lo:[0,1] neg_hi:[0,1]
	v_pk_add_f32 v[68:69], v[44:45], v[12:13]
	s_mov_b32 s30, 0xbf4178ce
	v_mov_b32_e32 v58, v68
	v_mov_b32_e32 v59, v32
	;; [unrolled: 1-line block ×3, first 2 shown]
	v_pk_add_f32 v[32:33], v[34:35], v[40:41] neg_lo:[0,1] neg_hi:[0,1]
	v_pk_add_f32 v[70:71], v[34:35], v[40:41]
	s_mov_b32 s31, 0xbf27a4f4
	s_mov_b32 s40, 0x3f7d64f0
	v_mov_b32_e32 v60, v70
	v_mov_b32_e32 v61, v32
	v_mov_b32_e32 v70, v33
	v_pk_add_f32 v[32:33], v[36:37], v[38:39] neg_lo:[0,1] neg_hi:[0,1]
	v_pk_add_f32 v[72:73], v[36:37], v[38:39]
	v_pk_mul_f32 v[74:75], v[64:65], s[30:31]
	s_mov_b32 s0, s31
	s_mov_b32 s1, s30
	;; [unrolled: 1-line block ×3, first 2 shown]
	v_mov_b32_e32 v62, v72
	v_mov_b32_e32 v63, v32
	;; [unrolled: 1-line block ×3, first 2 shown]
	v_pk_fma_f32 v[32:33], v[54:55], s[0:1], v[74:75] neg_lo:[0,0,1] neg_hi:[0,0,1]
	v_pk_fma_f32 v[76:77], v[54:55], s[0:1], v[74:75]
	v_pk_mul_f32 v[78:79], v[66:67], s[40:41]
	s_mov_b32 s20, s41
	s_mov_b32 s21, s40
	v_mov_b32_e32 v33, v77
	v_pk_fma_f32 v[82:83], v[56:57], s[20:21], v[78:79] neg_lo:[0,0,1] neg_hi:[0,0,1]
	v_pk_fma_f32 v[80:81], v[56:57], s[20:21], v[78:79]
	s_mov_b32 s42, 0xbf0a6770
	v_pk_add_f32 v[32:33], v[28:29], v[32:33]
	v_mov_b32_e32 v83, v81
	s_mov_b32 s43, 0x3f575c64
	v_pk_add_f32 v[32:33], v[82:83], v[32:33]
	v_pk_mul_f32 v[82:83], v[68:69], s[42:43]
	s_mov_b32 s18, s43
	s_mov_b32 s19, s42
	v_pk_fma_f32 v[86:87], v[58:59], s[18:19], v[82:83] neg_lo:[0,0,1] neg_hi:[0,0,1]
	v_pk_fma_f32 v[84:85], v[58:59], s[18:19], v[82:83]
	s_mov_b32 s34, 0xbe903f40
	v_mov_b32_e32 v87, v85
	s_mov_b32 s35, 0xbf75a155
	v_pk_add_f32 v[32:33], v[86:87], v[32:33]
	v_pk_mul_f32 v[86:87], v[70:71], s[34:35]
	s_mov_b32 s14, s35
	s_mov_b32 s15, s34
	v_pk_fma_f32 v[90:91], v[60:61], s[14:15], v[86:87] neg_lo:[0,0,1] neg_hi:[0,0,1]
	v_pk_fma_f32 v[88:89], v[60:61], s[14:15], v[86:87]
	s_mov_b32 s36, 0x3f68dda4
	v_mov_b32_e32 v91, v89
	s_mov_b32 s37, 0x3ed4b147
	v_pk_add_f32 v[32:33], v[90:91], v[32:33]
	v_pk_mul_f32 v[90:91], v[72:73], s[36:37]
	s_mov_b32 s26, s37
	s_mov_b32 s27, s36
	v_pk_fma_f32 v[98:99], v[62:63], s[26:27], v[90:91] neg_lo:[0,0,1] neg_hi:[0,0,1]
	v_pk_fma_f32 v[92:93], v[62:63], s[26:27], v[90:91]
	s_nop 0
	v_mov_b32_e32 v99, v93
	v_pk_add_f32 v[32:33], v[98:99], v[32:33]
	s_barrier
	s_and_saveexec_b64 s[22:23], s[6:7]
	s_cbranch_execz .LBB0_17
; %bb.16:
	v_pk_add_f32 v[30:31], v[30:31], v[28:29]
	s_mov_b32 s25, 0xbf68dda4
	v_pk_add_f32 v[30:31], v[42:43], v[30:31]
	s_mov_b32 s38, s25
	;; [unrolled: 2-line block ×4, first 2 shown]
	v_pk_add_f32 v[30:31], v[36:37], v[30:31]
	v_pk_mul_f32 v[34:35], v[66:67], s[38:39]
	v_pk_add_f32 v[30:31], v[38:39], v[30:31]
	s_mov_b32 s29, 0xbf7d64f0
	v_pk_add_f32 v[30:31], v[40:41], v[30:31]
	v_pk_fma_f32 v[40:41], v[56:57], s[24:25], v[34:35] neg_lo:[1,0,0] neg_hi:[1,0,0]
	v_pk_add_f32 v[12:13], v[12:13], v[30:31]
	s_mov_b32 s44, s29
	v_pk_add_f32 v[12:13], v[14:15], v[12:13]
	v_pk_mul_f32 v[14:15], v[64:65], s[42:43]
	v_pk_add_f32 v[36:37], v[50:51], v[12:13]
	v_pk_fma_f32 v[12:13], v[54:55], s[18:19], v[14:15]
	v_pk_fma_f32 v[30:31], v[54:55], s[18:19], v[14:15] neg_lo:[1,0,0] neg_hi:[1,0,0]
	s_mov_b32 s45, s41
	v_mov_b32_e32 v30, v12
	v_pk_add_f32 v[38:39], v[28:29], v[30:31]
	v_pk_fma_f32 v[30:31], v[56:57], s[24:25], v[34:35]
	s_mov_b32 s28, s41
	v_mov_b32_e32 v40, v30
	v_pk_add_f32 v[38:39], v[40:41], v[38:39]
	v_pk_mul_f32 v[40:41], v[68:69], s[44:45]
	v_lshlrev_b32_e32 v47, 3, v96
	v_pk_fma_f32 v[42:43], v[58:59], s[28:29], v[40:41]
	v_pk_fma_f32 v[44:45], v[58:59], s[28:29], v[40:41] neg_lo:[1,0,0] neg_hi:[1,0,0]
	v_pk_mul_f32 v[104:105], v[66:67], s[30:31]
	v_mov_b32_e32 v44, v42
	v_pk_add_f32 v[38:39], v[44:45], v[38:39]
	v_pk_mul_f32 v[44:45], v[70:71], s[30:31]
	v_pk_fma_f32 v[106:107], v[56:57], s[0:1], v[104:105]
	v_pk_fma_f32 v[50:51], v[60:61], s[0:1], v[44:45]
	v_pk_fma_f32 v[96:97], v[60:61], s[0:1], v[44:45] neg_lo:[1,0,0] neg_hi:[1,0,0]
	v_pk_fma_f32 v[108:109], v[56:57], s[0:1], v[104:105] neg_lo:[1,0,0] neg_hi:[1,0,0]
	v_mov_b32_e32 v96, v50
	v_pk_add_f32 v[38:39], v[96:97], v[38:39]
	v_pk_mul_f32 v[96:97], v[72:73], s[34:35]
	v_mov_b32_e32 v108, v106
	v_pk_fma_f32 v[100:101], v[62:63], s[14:15], v[96:97]
	v_pk_fma_f32 v[102:103], v[62:63], s[14:15], v[96:97] neg_lo:[1,0,0] neg_hi:[1,0,0]
	s_mov_b32 s47, s35
	v_mov_b32_e32 v102, v100
	v_pk_add_f32 v[38:39], v[102:103], v[38:39]
	ds_write2_b64 v47, v[36:37], v[38:39] offset1:1
	v_pk_mul_f32 v[36:37], v[64:65], s[38:39]
	s_mov_b32 s39, 0x3e903f40
	v_pk_fma_f32 v[38:39], v[54:55], s[24:25], v[36:37]
	v_pk_fma_f32 v[102:103], v[54:55], s[24:25], v[36:37] neg_lo:[1,0,0] neg_hi:[1,0,0]
	s_mov_b32 s46, s39
	v_mov_b32_e32 v102, v38
	v_pk_add_f32 v[102:103], v[28:29], v[102:103]
	s_mov_b32 s38, s35
	v_pk_add_f32 v[102:103], v[108:109], v[102:103]
	v_pk_mul_f32 v[108:109], v[68:69], s[46:47]
	s_mov_b32 s49, s43
	v_pk_fma_f32 v[110:111], v[58:59], s[38:39], v[108:109]
	v_pk_fma_f32 v[112:113], v[58:59], s[38:39], v[108:109] neg_lo:[1,0,0] neg_hi:[1,0,0]
	v_pk_mul_f32 v[126:127], v[66:67], s[46:47]
	v_mov_b32_e32 v112, v110
	v_pk_add_f32 v[102:103], v[112:113], v[102:103]
	v_pk_mul_f32 v[112:113], v[70:71], s[40:41]
	s_mov_b32 s41, 0x3f0a6770
	v_pk_fma_f32 v[114:115], v[60:61], s[20:21], v[112:113]
	v_pk_fma_f32 v[116:117], v[60:61], s[20:21], v[112:113] neg_lo:[1,0,0] neg_hi:[1,0,0]
	s_mov_b32 s48, s41
	v_mov_b32_e32 v116, v114
	v_pk_add_f32 v[102:103], v[116:117], v[102:103]
	s_mov_b32 s40, s43
	v_pk_mul_f32 v[116:117], v[72:73], s[48:49]
	v_pk_fma_f32 v[128:129], v[56:57], s[38:39], v[126:127]
	v_pk_fma_f32 v[118:119], v[62:63], s[40:41], v[116:117]
	v_pk_fma_f32 v[120:121], v[62:63], s[40:41], v[116:117] neg_lo:[1,0,0] neg_hi:[1,0,0]
	v_pk_fma_f32 v[130:131], v[56:57], s[38:39], v[126:127] neg_lo:[1,0,0] neg_hi:[1,0,0]
	v_mov_b32_e32 v120, v118
	v_pk_add_f32 v[102:103], v[120:121], v[102:103]
	v_pk_mul_f32 v[120:121], v[64:65], s[44:45]
	v_mov_b32_e32 v130, v128
	v_pk_fma_f32 v[122:123], v[54:55], s[28:29], v[120:121]
	v_pk_fma_f32 v[124:125], v[54:55], s[28:29], v[120:121] neg_lo:[1,0,0] neg_hi:[1,0,0]
	v_pk_mul_f32 v[98:99], v[54:55], s[0:1]
	v_mov_b32_e32 v124, v122
	v_pk_add_f32 v[124:125], v[28:29], v[124:125]
	v_pk_add_f32 v[74:75], v[74:75], v[98:99] neg_lo:[0,1] neg_hi:[0,1]
	v_pk_add_f32 v[124:125], v[130:131], v[124:125]
	v_pk_mul_f32 v[130:131], v[68:69], s[36:37]
	v_mov_b32_e32 v77, v75
	v_pk_fma_f32 v[132:133], v[58:59], s[26:27], v[130:131]
	v_pk_fma_f32 v[134:135], v[58:59], s[26:27], v[130:131] neg_lo:[1,0,0] neg_hi:[1,0,0]
	v_pk_add_f32 v[74:75], v[28:29], v[76:77]
	v_mov_b32_e32 v134, v132
	v_pk_add_f32 v[124:125], v[134:135], v[124:125]
	v_pk_mul_f32 v[134:135], v[70:71], s[42:43]
	v_pk_mul_f32 v[98:99], v[62:63], s[26:27]
	v_pk_fma_f32 v[136:137], v[60:61], s[18:19], v[134:135]
	v_pk_fma_f32 v[138:139], v[60:61], s[18:19], v[134:135] neg_lo:[1,0,0] neg_hi:[1,0,0]
	v_pk_mul_f32 v[64:65], v[64:65], s[34:35]
	v_mov_b32_e32 v138, v136
	v_pk_add_f32 v[124:125], v[138:139], v[124:125]
	v_pk_mul_f32 v[138:139], v[72:73], s[30:31]
	v_pk_mul_f32 v[66:67], v[66:67], s[48:49]
	v_pk_fma_f32 v[140:141], v[62:63], s[0:1], v[138:139]
	v_pk_fma_f32 v[142:143], v[62:63], s[0:1], v[138:139] neg_lo:[1,0,0] neg_hi:[1,0,0]
	v_pk_mul_f32 v[68:69], v[68:69], s[30:31]
	v_mov_b32_e32 v142, v140
	v_pk_add_f32 v[124:125], v[142:143], v[124:125]
	v_pk_mul_f32 v[142:143], v[56:57], s[20:21]
	ds_write2_b64 v47, v[102:103], v[124:125] offset0:2 offset1:3
	v_pk_mul_f32 v[102:103], v[58:59], s[18:19]
	v_pk_add_f32 v[76:77], v[78:79], v[142:143] neg_lo:[0,1] neg_hi:[0,1]
	v_pk_mul_f32 v[124:125], v[60:61], s[14:15]
	v_mov_b32_e32 v81, v77
	v_pk_add_f32 v[76:77], v[82:83], v[102:103] neg_lo:[0,1] neg_hi:[0,1]
	v_pk_fma_f32 v[78:79], v[54:55], s[14:15], v[64:65] neg_lo:[1,0,0] neg_hi:[1,0,0]
	v_mov_b32_e32 v85, v77
	v_pk_add_f32 v[76:77], v[86:87], v[124:125] neg_lo:[0,1] neg_hi:[0,1]
	v_pk_add_f32 v[74:75], v[80:81], v[74:75]
	v_mov_b32_e32 v89, v77
	v_pk_add_f32 v[76:77], v[90:91], v[98:99] neg_lo:[0,1] neg_hi:[0,1]
	v_pk_fma_f32 v[80:81], v[56:57], s[40:41], v[66:67]
	v_mov_b32_e32 v93, v77
	v_pk_fma_f32 v[76:77], v[54:55], s[14:15], v[64:65]
	v_pk_fma_f32 v[64:65], v[54:55], s[14:15], v[64:65] neg_lo:[0,0,1] neg_hi:[0,0,1]
	v_mov_b32_e32 v78, v76
	v_pk_fma_f32 v[82:83], v[56:57], s[40:41], v[66:67] neg_lo:[1,0,0] neg_hi:[1,0,0]
	v_mov_b32_e32 v65, v77
	v_pk_fma_f32 v[66:67], v[56:57], s[40:41], v[66:67] neg_lo:[0,0,1] neg_hi:[0,0,1]
	v_pk_add_f32 v[78:79], v[28:29], v[78:79]
	v_mov_b32_e32 v82, v80
	v_pk_add_f32 v[64:65], v[28:29], v[64:65]
	v_mov_b32_e32 v67, v81
	v_pk_add_f32 v[74:75], v[84:85], v[74:75]
	v_pk_add_f32 v[78:79], v[82:83], v[78:79]
	v_pk_fma_f32 v[82:83], v[58:59], s[0:1], v[68:69]
	v_pk_fma_f32 v[84:85], v[58:59], s[0:1], v[68:69] neg_lo:[1,0,0] neg_hi:[1,0,0]
	v_pk_add_f32 v[64:65], v[66:67], v[64:65]
	v_pk_fma_f32 v[66:67], v[58:59], s[0:1], v[68:69] neg_lo:[0,0,1] neg_hi:[0,0,1]
	v_pk_mul_f32 v[70:71], v[70:71], s[36:37]
	v_mov_b32_e32 v84, v82
	v_mov_b32_e32 v67, v83
	v_pk_add_f32 v[78:79], v[84:85], v[78:79]
	v_pk_fma_f32 v[84:85], v[60:61], s[26:27], v[70:71]
	v_pk_fma_f32 v[86:87], v[60:61], s[26:27], v[70:71] neg_lo:[1,0,0] neg_hi:[1,0,0]
	v_pk_add_f32 v[64:65], v[66:67], v[64:65]
	v_pk_fma_f32 v[66:67], v[60:61], s[26:27], v[70:71] neg_lo:[0,0,1] neg_hi:[0,0,1]
	v_pk_mul_f32 v[72:73], v[72:73], s[44:45]
	v_mov_b32_e32 v86, v84
	v_mov_b32_e32 v67, v85
	v_pk_add_f32 v[78:79], v[86:87], v[78:79]
	v_pk_fma_f32 v[86:87], v[62:63], s[28:29], v[72:73]
	v_pk_add_f32 v[64:65], v[66:67], v[64:65]
	v_pk_fma_f32 v[66:67], v[62:63], s[28:29], v[72:73] neg_lo:[0,0,1] neg_hi:[0,0,1]
	v_pk_fma_f32 v[14:15], v[54:55], s[18:19], v[14:15] neg_lo:[0,0,1] neg_hi:[0,0,1]
	v_mov_b32_e32 v67, v87
	v_pk_add_f32 v[64:65], v[66:67], v[64:65]
	ds_write2_b64 v47, v[64:65], v[32:33] offset0:6 offset1:7
	v_pk_fma_f32 v[64:65], v[54:55], s[28:29], v[120:121] neg_lo:[0,0,1] neg_hi:[0,0,1]
	v_pk_fma_f32 v[36:37], v[54:55], s[24:25], v[36:37] neg_lo:[0,0,1] neg_hi:[0,0,1]
	v_mov_b32_e32 v15, v13
	v_mov_b32_e32 v65, v123
	v_pk_fma_f32 v[66:67], v[56:57], s[38:39], v[126:127] neg_lo:[0,0,1] neg_hi:[0,0,1]
	v_mov_b32_e32 v37, v39
	v_pk_fma_f32 v[38:39], v[56:57], s[0:1], v[104:105] neg_lo:[0,0,1] neg_hi:[0,0,1]
	v_pk_add_f32 v[12:13], v[28:29], v[14:15]
	v_pk_fma_f32 v[14:15], v[56:57], s[24:25], v[34:35] neg_lo:[0,0,1] neg_hi:[0,0,1]
	v_pk_add_f32 v[64:65], v[28:29], v[64:65]
	v_mov_b32_e32 v67, v129
	v_pk_add_f32 v[36:37], v[28:29], v[36:37]
	v_mov_b32_e32 v39, v107
	v_mov_b32_e32 v15, v31
	v_pk_add_f32 v[64:65], v[66:67], v[64:65]
	v_pk_fma_f32 v[66:67], v[58:59], s[26:27], v[130:131] neg_lo:[0,0,1] neg_hi:[0,0,1]
	v_pk_add_f32 v[36:37], v[38:39], v[36:37]
	v_pk_fma_f32 v[38:39], v[58:59], s[38:39], v[108:109] neg_lo:[0,0,1] neg_hi:[0,0,1]
	;; [unrolled: 2-line block ×3, first 2 shown]
	v_mov_b32_e32 v67, v133
	v_mov_b32_e32 v39, v111
	;; [unrolled: 1-line block ×3, first 2 shown]
	v_pk_add_f32 v[64:65], v[66:67], v[64:65]
	v_pk_fma_f32 v[66:67], v[60:61], s[18:19], v[134:135] neg_lo:[0,0,1] neg_hi:[0,0,1]
	v_pk_add_f32 v[36:37], v[38:39], v[36:37]
	v_pk_fma_f32 v[38:39], v[60:61], s[20:21], v[112:113] neg_lo:[0,0,1] neg_hi:[0,0,1]
	;; [unrolled: 2-line block ×3, first 2 shown]
	v_mov_b32_e32 v67, v137
	v_mov_b32_e32 v39, v115
	;; [unrolled: 1-line block ×3, first 2 shown]
	v_pk_add_f32 v[74:75], v[88:89], v[74:75]
	v_pk_fma_f32 v[88:89], v[62:63], s[28:29], v[72:73] neg_lo:[1,0,0] neg_hi:[1,0,0]
	v_pk_add_f32 v[64:65], v[66:67], v[64:65]
	v_pk_fma_f32 v[66:67], v[62:63], s[0:1], v[138:139] neg_lo:[0,0,1] neg_hi:[0,0,1]
	;; [unrolled: 2-line block ×4, first 2 shown]
	v_mov_b32_e32 v88, v86
	v_mov_b32_e32 v67, v141
	;; [unrolled: 1-line block ×4, first 2 shown]
	v_pk_add_f32 v[74:75], v[92:93], v[74:75]
	v_pk_add_f32 v[78:79], v[88:89], v[78:79]
	;; [unrolled: 1-line block ×5, first 2 shown]
	ds_write2_b64 v47, v[74:75], v[78:79] offset0:4 offset1:5
	ds_write2_b64 v47, v[64:65], v[36:37] offset0:8 offset1:9
	ds_write_b64 v47, v[12:13] offset:80
.LBB0_17:
	s_or_b64 exec, exec, s[22:23]
	v_add_u32_e32 v12, 0x400, v46
	s_waitcnt lgkmcnt(0)
	s_barrier
	ds_read2_b64 v[12:15], v12 offset0:48 offset1:136
	ds_read2_b64 v[28:31], v46 offset1:88
	v_add_u32_e32 v34, 0x800, v46
	ds_read2_b64 v[34:37], v34 offset0:96 offset1:184
	ds_read_b64 v[38:39], v46 offset:4224
	v_mov_b32_e32 v42, v9
	s_waitcnt lgkmcnt(3)
	v_pk_mul_f32 v[44:45], v[8:9], v[14:15] op_sel:[0,1] op_sel_hi:[1,0]
	v_pk_mul_f32 v[40:41], v[8:9], v[14:15]
	v_mov_b32_e32 v44, v45
	s_waitcnt lgkmcnt(1)
	v_pk_mul_f32 v[50:51], v[10:11], v[34:35] op_sel:[0,1] op_sel_hi:[1,0]
	v_pk_fma_f32 v[8:9], v[8:9], v[14:15], v[44:45] op_sel:[0,1,0] op_sel_hi:[1,0,1] neg_lo:[0,0,1] neg_hi:[0,0,1]
	v_mov_b32_e32 v44, v11
	v_mov_b32_e32 v50, v51
	v_pk_mul_f32 v[42:43], v[42:43], v[14:15] op_sel:[0,1] op_sel_hi:[1,0]
	v_pk_mul_f32 v[14:15], v[10:11], v[34:35]
	v_pk_mul_f32 v[44:45], v[44:45], v[34:35] op_sel:[0,1] op_sel_hi:[1,0]
	v_pk_fma_f32 v[10:11], v[10:11], v[34:35], v[50:51] op_sel:[0,1,0] op_sel_hi:[1,0,1] neg_lo:[0,0,1] neg_hi:[0,0,1]
	v_mov_b32_e32 v34, v31
	v_pk_mul_f32 v[50:51], v[4:5], v[30:31] op_sel_hi:[1,0]
	s_mov_b32 s0, 0x3d64c772
	v_pk_fma_f32 v[34:35], v[4:5], v[34:35], v[50:51] op_sel:[0,0,1] op_sel_hi:[1,1,0] neg_lo:[0,0,1] neg_hi:[0,0,1]
	v_pk_fma_f32 v[4:5], v[4:5], v[30:31], v[50:51] op_sel:[0,1,1] op_sel_hi:[1,1,0]
	v_pk_mul_f32 v[30:31], v[6:7], v[12:13] op_sel_hi:[1,0]
	v_mov_b32_e32 v4, v13
	v_mov_b32_e32 v35, v5
	v_pk_fma_f32 v[4:5], v[6:7], v[4:5], v[30:31] op_sel:[0,0,1] op_sel_hi:[1,1,0] neg_lo:[0,0,1] neg_hi:[0,0,1]
	v_pk_fma_f32 v[6:7], v[6:7], v[12:13], v[30:31] op_sel:[0,1,1] op_sel_hi:[1,1,0]
	v_pk_mul_f32 v[12:13], v[0:1], v[36:37] op_sel_hi:[1,0]
	v_mov_b32_e32 v6, v37
	v_mov_b32_e32 v5, v7
	v_pk_fma_f32 v[6:7], v[0:1], v[6:7], v[12:13] op_sel:[0,0,1] op_sel_hi:[1,1,0] neg_lo:[0,0,1] neg_hi:[0,0,1]
	v_pk_fma_f32 v[0:1], v[0:1], v[36:37], v[12:13] op_sel:[0,1,1] op_sel_hi:[1,1,0]
	s_waitcnt lgkmcnt(0)
	v_pk_mul_f32 v[12:13], v[2:3], v[38:39] op_sel_hi:[1,0]
	v_mov_b32_e32 v0, v39
	v_mov_b32_e32 v7, v1
	v_pk_fma_f32 v[0:1], v[2:3], v[0:1], v[12:13] op_sel:[0,0,1] op_sel_hi:[1,1,0] neg_lo:[0,0,1] neg_hi:[0,0,1]
	v_pk_fma_f32 v[2:3], v[2:3], v[38:39], v[12:13] op_sel:[0,1,1] op_sel_hi:[1,1,0]
	v_mov_b32_e32 v15, v34
	v_mov_b32_e32 v1, v3
	;; [unrolled: 1-line block ×5, first 2 shown]
	v_pk_add_f32 v[2:3], v[34:35], v[0:1]
	v_pk_add_f32 v[30:31], v[34:35], v[0:1] neg_lo:[0,1] neg_hi:[0,1]
	v_pk_add_f32 v[14:15], v[14:15], v[44:45]
	v_pk_add_f32 v[0:1], v[40:41], v[42:43]
	;; [unrolled: 1-line block ×3, first 2 shown]
	v_mov_b32_e32 v11, v14
	v_mov_b32_e32 v9, v0
	v_pk_add_f32 v[36:37], v[4:5], v[6:7] neg_lo:[0,1] neg_hi:[0,1]
	v_pk_add_f32 v[4:5], v[10:11], v[8:9] neg_lo:[0,1] neg_hi:[0,1]
	v_mov_b32_e32 v34, v13
	v_mov_b32_e32 v35, v8
	;; [unrolled: 1-line block ×4, first 2 shown]
	v_pk_add_f32 v[8:9], v[34:35], v[8:9]
	v_pk_add_f32 v[10:11], v[0:1], v[14:15]
	v_mov_b32_e32 v0, v13
	v_mov_b32_e32 v14, v3
	v_pk_add_f32 v[12:13], v[0:1], v[14:15] neg_lo:[0,1] neg_hi:[0,1]
	v_sub_f32_e32 v14, v3, v10
	v_mov_b32_e32 v2, v10
	v_mov_b32_e32 v3, v9
	v_pk_add_f32 v[2:3], v[2:3], v[0:1] neg_lo:[0,1] neg_hi:[0,1]
	v_pk_add_f32 v[0:1], v[4:5], v[36:37]
	v_sub_f32_e32 v47, v30, v4
	v_pk_add_f32 v[6:7], v[36:37], v[30:31] neg_lo:[0,1] neg_hi:[0,1]
	v_pk_add_f32 v[34:35], v[4:5], v[36:37] neg_lo:[0,1] neg_hi:[0,1]
	v_pk_add_f32 v[10:11], v[8:9], v[10:11]
	v_pk_add_f32 v[36:37], v[0:1], v[30:31]
	v_pk_mul_f32 v[2:3], v[2:3], s[0:1] op_sel_hi:[1,0]
	s_mov_b32 s0, 0x3f3bfb3b
	s_mov_b32 s20, 0x3f4a47b2
	v_mov_b32_e32 v30, v15
	v_mov_b32_e32 v4, v9
	v_pk_add_f32 v[0:1], v[28:29], v[10:11]
	v_pk_mul_f32 v[28:29], v[12:13], s[0:1] op_sel_hi:[1,0]
	s_mov_b32 s18, 0x3f08b237
	s_mov_b32 s21, 0xbeae86e6
	v_pk_fma_f32 v[44:45], v[12:13], s[0:1], v[2:3] op_sel_hi:[1,0,1] neg_lo:[0,0,1] neg_hi:[0,0,1]
	s_mov_b32 s0, 0xbf4a47b2
	v_pk_add_f32 v[4:5], v[30:31], v[4:5] neg_lo:[0,1] neg_hi:[0,1]
	v_pk_mul_f32 v[34:35], v[34:35], s[18:19] op_sel_hi:[1,0]
	v_fmamk_f32 v43, v14, 0x3f4a47b2, v2
	v_fma_f32 v42, v14, s0, -v28
	v_pk_mul_f32 v[14:15], v[4:5], s[20:21]
	v_mul_f32_e32 v11, 0x3f955555, v11
	s_mov_b32 s18, 0xbf5ff5aa
	v_fmamk_f32 v8, v10, 0xbf955555, v0
	v_mov_b32_e32 v2, v35
	v_mov_b32_e32 v10, v15
	s_mov_b32 s14, 0xbee1c552
	v_pk_mul_f32 v[40:41], v[6:7], s[18:19] op_sel_hi:[1,0]
	s_mov_b32 s0, 0x3eae86e6
	v_pk_add_f32 v[30:31], v[2:3], v[10:11]
	v_mov_b32_e32 v2, v3
	v_pk_mul_f32 v[38:39], v[36:37], s[14:15] op_sel_hi:[1,0]
	v_fmamk_f32 v13, v47, 0xbeae86e6, v34
	v_pk_fma_f32 v[6:7], v[6:7], s[18:19], v[34:35] op_sel_hi:[1,0,1] neg_lo:[0,0,1] neg_hi:[0,0,1]
	v_fma_f32 v12, v47, s0, -v40
	v_pk_add_f32 v[10:11], v[0:1], v[10:11] neg_lo:[0,1] neg_hi:[0,1]
	v_pk_fma_f32 v[2:3], v[4:5], s[20:21], v[2:3]
	v_pk_fma_f32 v[4:5], v[4:5], s[20:21], v[40:41] neg_lo:[1,0,1] neg_hi:[1,0,1]
	v_pk_fma_f32 v[36:37], v[36:37], s[14:15], v[6:7] op_sel_hi:[1,0,1]
	v_pk_add_f32 v[6:7], v[42:43], v[8:9] op_sel_hi:[1,0]
	v_pk_add_f32 v[42:43], v[38:39], v[12:13] op_sel_hi:[0,1]
	v_mov_b32_e32 v31, v11
	v_sub_f32_e64 v15, -v14, v29
	v_mov_b32_e32 v3, v5
	v_mov_b32_e32 v14, v39
	;; [unrolled: 1-line block ×3, first 2 shown]
	v_pk_add_f32 v[4:5], v[14:15], v[30:31]
	v_pk_add_f32 v[28:29], v[2:3], v[38:39]
	v_mov_b32_e32 v9, v11
	v_mov_b32_e32 v2, v5
	;; [unrolled: 1-line block ×5, first 2 shown]
	v_pk_add_f32 v[12:13], v[42:43], v[6:7]
	v_pk_add_f32 v[8:9], v[44:45], v[8:9]
	v_pk_add_f32 v[2:3], v[2:3], v[10:11] neg_lo:[0,1] neg_hi:[0,1]
	v_pk_add_f32 v[14:15], v[36:37], v[8:9]
	v_pk_add_f32 v[10:11], v[8:9], v[36:37] neg_lo:[0,1] neg_hi:[0,1]
	v_pk_add_f32 v[28:29], v[28:29], v[4:5]
	v_mov_b32_e32 v4, v13
	v_mov_b32_e32 v5, v3
	v_pk_add_f32 v[6:7], v[6:7], v[42:43] neg_lo:[0,1] neg_hi:[0,1]
	s_barrier
	ds_write2_b64 v94, v[0:1], v[4:5] offset1:11
	v_mov_b32_e32 v4, v12
	v_mov_b32_e32 v5, v2
	;; [unrolled: 1-line block ×4, first 2 shown]
	ds_write2_b64 v94, v[4:5], v[8:9] offset0:22 offset1:33
	v_mov_b32_e32 v4, v14
	v_mov_b32_e32 v5, v11
	;; [unrolled: 1-line block ×4, first 2 shown]
	ds_write2_b64 v94, v[4:5], v[8:9] offset0:44 offset1:55
	v_mov_b32_e32 v4, v7
	v_mov_b32_e32 v5, v28
	ds_write_b64 v94, v[4:5] offset:528
	s_waitcnt lgkmcnt(0)
	s_barrier
	s_and_saveexec_b64 s[0:1], s[4:5]
	s_xor_b64 s[0:1], exec, s[0:1]
	s_andn2_saveexec_b64 s[0:1], s[0:1]
	s_cbranch_execz .LBB0_19
; %bb.18:
	v_add_u32_e32 v0, 0x800, v46
	v_add_u32_e32 v1, 0xc00, v46
	ds_read2_b64 v[30:33], v1 offset0:78 offset1:155
	ds_read2_b64 v[4:7], v0 offset0:52 offset1:129
	;; [unrolled: 1-line block ×3, first 2 shown]
	ds_read2_b64 v[0:3], v46 offset1:77
	s_waitcnt lgkmcnt(3)
	v_mov_b32_e32 v28, v31
	s_waitcnt lgkmcnt(2)
	v_mov_b32_e32 v29, v7
	v_mov_b32_e32 v14, v4
	s_waitcnt lgkmcnt(1)
	v_mov_b32_e32 v15, v11
	v_mov_b32_e32 v12, v8
	s_waitcnt lgkmcnt(0)
	v_mov_b32_e32 v13, v2
	v_mov_b32_e32 v7, v30
	v_mov_b32_e32 v11, v5
	;; [unrolled: 1-line block ×3, first 2 shown]
.LBB0_19:
	s_or_b64 exec, exec, s[0:1]
	s_and_saveexec_b64 s[0:1], s[2:3]
	s_cbranch_execz .LBB0_21
; %bb.20:
	v_pk_mul_f32 v[8:9], v[22:23], v[2:3] op_sel_hi:[1,0]
	v_pk_mul_f32 v[30:31], v[18:19], v[28:29] op_sel_hi:[1,0]
	v_pk_fma_f32 v[38:39], v[22:23], v[12:13], v[8:9] op_sel:[0,0,1] op_sel_hi:[1,1,0]
	v_pk_fma_f32 v[8:9], v[22:23], v[12:13], v[8:9] op_sel:[0,0,1] op_sel_hi:[1,0,0] neg_lo:[1,0,0] neg_hi:[1,0,0]
	v_pk_mul_f32 v[4:5], v[26:27], v[10:11] op_sel:[0,1]
	v_mov_b32_e32 v39, v9
	v_pk_fma_f32 v[8:9], v[18:19], v[6:7], v[30:31] op_sel:[0,1,1] op_sel_hi:[1,1,0]
	v_pk_fma_f32 v[18:19], v[18:19], v[6:7], v[30:31] op_sel:[0,1,1] op_sel_hi:[1,1,0] neg_lo:[1,0,0] neg_hi:[1,0,0]
	v_pk_mul_f32 v[34:35], v[24:25], v[14:15] op_sel:[0,1]
	v_mov_b32_e32 v9, v19
	;; [unrolled: 4-line block ×3, first 2 shown]
	v_pk_fma_f32 v[14:15], v[24:25], v[10:11], v[34:35] op_sel:[0,0,1] op_sel_hi:[1,1,0]
	v_pk_fma_f32 v[10:11], v[24:25], v[10:11], v[34:35] op_sel:[0,0,1] op_sel_hi:[1,0,0] neg_lo:[1,0,0] neg_hi:[1,0,0]
	v_pk_mul_f32 v[2:3], v[20:21], v[2:3] op_sel:[0,1]
	v_pk_add_f32 v[4:5], v[0:1], v[18:19] neg_lo:[0,1] neg_hi:[0,1]
	v_mov_b32_e32 v15, v11
	v_pk_fma_f32 v[10:11], v[52:53], v[32:33], v[36:37] op_sel:[0,0,1] op_sel_hi:[1,1,0]
	v_pk_fma_f32 v[18:19], v[52:53], v[32:33], v[36:37] op_sel:[0,0,1] op_sel_hi:[1,0,0] neg_lo:[1,0,0] neg_hi:[1,0,0]
	v_pk_mul_f32 v[28:29], v[16:17], v[28:29] op_sel:[0,1]
	v_mov_b32_e32 v11, v19
	v_pk_fma_f32 v[18:19], v[20:21], v[12:13], v[2:3] op_sel:[0,1,1] op_sel_hi:[1,1,0]
	v_pk_fma_f32 v[2:3], v[20:21], v[12:13], v[2:3] op_sel:[0,1,1] op_sel_hi:[1,1,0] neg_lo:[1,0,0] neg_hi:[1,0,0]
	v_pk_add_f32 v[8:9], v[38:39], v[8:9] neg_lo:[0,1] neg_hi:[0,1]
	v_mov_b32_e32 v19, v3
	v_pk_fma_f32 v[2:3], v[16:17], v[6:7], v[28:29] op_sel:[0,0,1] op_sel_hi:[1,1,0]
	v_pk_fma_f32 v[6:7], v[16:17], v[6:7], v[28:29] op_sel:[0,0,1] op_sel_hi:[1,0,0] neg_lo:[1,0,0] neg_hi:[1,0,0]
	v_pk_add_f32 v[10:11], v[14:15], v[10:11] neg_lo:[0,1] neg_hi:[0,1]
	v_mov_b32_e32 v3, v7
	v_pk_add_f32 v[2:3], v[18:19], v[2:3] neg_lo:[0,1] neg_hi:[0,1]
	v_pk_fma_f32 v[6:7], v[38:39], 2.0, v[8:9] op_sel_hi:[1,0,1] neg_lo:[0,0,1] neg_hi:[0,0,1]
	v_pk_add_f32 v[16:17], v[4:5], v[8:9] op_sel:[0,1] op_sel_hi:[1,0]
	v_pk_add_f32 v[8:9], v[4:5], v[8:9] op_sel:[0,1] op_sel_hi:[1,0] neg_lo:[0,1] neg_hi:[0,1]
	v_pk_fma_f32 v[14:15], v[14:15], 2.0, v[10:11] op_sel_hi:[1,0,1] neg_lo:[0,0,1] neg_hi:[0,0,1]
	v_mov_b32_e32 v17, v9
	v_pk_add_f32 v[8:9], v[2:3], v[10:11] op_sel:[0,1] op_sel_hi:[1,0]
	v_pk_add_f32 v[10:11], v[2:3], v[10:11] op_sel:[0,1] op_sel_hi:[1,0] neg_lo:[0,1] neg_hi:[0,1]
	v_pk_fma_f32 v[0:1], v[0:1], 2.0, v[4:5] op_sel_hi:[1,0,1] neg_lo:[0,0,1] neg_hi:[0,0,1]
	v_mov_b32_e32 v9, v11
	v_pk_fma_f32 v[12:13], v[18:19], 2.0, v[2:3] op_sel_hi:[1,0,1] neg_lo:[0,0,1] neg_hi:[0,0,1]
	v_pk_fma_f32 v[2:3], v[2:3], 2.0, v[8:9] op_sel_hi:[1,0,1] neg_lo:[0,0,1] neg_hi:[0,0,1]
	s_mov_b32 s2, 0x3f3504f3
	v_pk_fma_f32 v[4:5], v[4:5], 2.0, v[16:17] op_sel_hi:[1,0,1] neg_lo:[0,0,1] neg_hi:[0,0,1]
	v_pk_add_f32 v[6:7], v[0:1], v[6:7] neg_lo:[0,1] neg_hi:[0,1]
	v_pk_add_f32 v[14:15], v[12:13], v[14:15] neg_lo:[0,1] neg_hi:[0,1]
	v_pk_mul_f32 v[10:11], v[2:3], s[2:3] op_sel_hi:[1,0]
	v_pk_fma_f32 v[2:3], v[2:3], s[2:3], v[4:5] op_sel_hi:[1,0,1] neg_lo:[1,0,0] neg_hi:[1,0,0]
	v_pk_fma_f32 v[0:1], v[0:1], 2.0, v[6:7] op_sel_hi:[1,0,1] neg_lo:[0,0,1] neg_hi:[0,0,1]
	v_pk_fma_f32 v[12:13], v[12:13], 2.0, v[14:15] op_sel_hi:[1,0,1] neg_lo:[0,0,1] neg_hi:[0,0,1]
	v_pk_add_f32 v[18:19], v[2:3], v[10:11] op_sel:[0,1] op_sel_hi:[1,0]
	v_pk_add_f32 v[2:3], v[2:3], v[10:11] op_sel:[0,1] op_sel_hi:[1,0] neg_lo:[0,1] neg_hi:[0,1]
	v_pk_add_f32 v[12:13], v[0:1], v[12:13] neg_lo:[0,1] neg_hi:[0,1]
	v_mov_b32_e32 v19, v3
	v_pk_fma_f32 v[0:1], v[0:1], 2.0, v[12:13] op_sel_hi:[1,0,1] neg_lo:[0,0,1] neg_hi:[0,0,1]
	v_pk_fma_f32 v[2:3], v[4:5], 2.0, v[18:19] op_sel_hi:[1,0,1] neg_lo:[0,0,1] neg_hi:[0,0,1]
	ds_write2_b64 v46, v[0:1], v[2:3] offset1:77
	v_pk_add_f32 v[0:1], v[6:7], v[14:15] op_sel:[0,1] op_sel_hi:[1,0]
	v_pk_add_f32 v[2:3], v[6:7], v[14:15] op_sel:[0,1] op_sel_hi:[1,0] neg_lo:[0,1] neg_hi:[0,1]
	v_pk_mul_f32 v[4:5], v[8:9], s[2:3] op_sel_hi:[1,0]
	v_mov_b32_e32 v1, v3
	v_pk_fma_f32 v[2:3], v[6:7], 2.0, v[0:1] op_sel_hi:[1,0,1] neg_lo:[0,0,1] neg_hi:[0,0,1]
	v_pk_fma_f32 v[6:7], v[8:9], s[2:3], v[16:17] op_sel_hi:[1,0,1]
	s_nop 0
	v_pk_add_f32 v[8:9], v[6:7], v[4:5] op_sel:[0,1] op_sel_hi:[1,0]
	v_pk_add_f32 v[4:5], v[6:7], v[4:5] op_sel:[0,1] op_sel_hi:[1,0] neg_lo:[0,1] neg_hi:[0,1]
	s_nop 0
	v_mov_b32_e32 v9, v5
	v_pk_fma_f32 v[4:5], v[16:17], 2.0, v[8:9] op_sel_hi:[1,0,1] neg_lo:[0,0,1] neg_hi:[0,0,1]
	ds_write2_b64 v46, v[2:3], v[4:5] offset0:154 offset1:231
	v_add_u32_e32 v2, 0x800, v46
	ds_write2_b64 v2, v[12:13], v[18:19] offset0:52 offset1:129
	v_add_u32_e32 v2, 0xc00, v46
	ds_write2_b64 v2, v[0:1], v[8:9] offset0:78 offset1:155
.LBB0_21:
	s_or_b64 exec, exec, s[0:1]
	s_waitcnt lgkmcnt(0)
	s_barrier
	s_and_b64 exec, exec, s[6:7]
	s_cbranch_execz .LBB0_23
; %bb.22:
	global_load_dwordx2 v[8:9], v46, s[12:13]
	global_load_dwordx2 v[10:11], v46, s[12:13] offset:448
	global_load_dwordx2 v[12:13], v46, s[12:13] offset:896
	;; [unrolled: 1-line block ×3, first 2 shown]
	ds_read_b64 v[16:17], v46
	global_load_dwordx2 v[20:21], v46, s[12:13] offset:1792
	ds_read2_b64 v[0:3], v46 offset0:56 offset1:112
	ds_read2_b64 v[4:7], v46 offset0:168 offset1:224
	global_load_dwordx2 v[26:27], v46, s[12:13] offset:2240
	global_load_dwordx2 v[28:29], v46, s[12:13] offset:2688
	v_mad_u64_u32 v[22:23], s[0:1], s10, v48, 0
	v_mad_u64_u32 v[24:25], s[2:3], s8, v49, 0
	v_mov_b32_e32 v30, v23
	v_mov_b32_e32 v34, v25
	v_mad_u64_u32 v[30:31], s[4:5], s11, v48, v[30:31]
	v_mov_b32_e32 v18, s16
	v_mov_b32_e32 v19, s17
	;; [unrolled: 3-line block ×3, first 2 shown]
	v_lshl_add_u64 v[18:19], v[22:23], 3, v[18:19]
	v_mov_b32_e32 v40, 0x1c0
	v_lshl_add_u64 v[22:23], v[24:25], 3, v[18:19]
	s_mul_i32 s2, s9, 0x1c0
	v_mad_u64_u32 v[24:25], s[4:5], s8, v40, v[22:23]
	s_mov_b32 s0, 0x606a63be
	v_add_u32_e32 v25, s2, v25
	s_mov_b32 s1, 0x3f5a98ef
	v_mad_u64_u32 v[30:31], s[4:5], s8, v40, v[24:25]
	v_add_u32_e32 v31, s2, v31
	v_mad_u64_u32 v[34:35], s[4:5], s8, v40, v[30:31]
	v_add_u32_e32 v35, s2, v35
	v_mov_b32_e32 v47, 0
	v_lshl_add_u64 v[32:33], s[12:13], 0, v[46:47]
	s_movk_i32 s3, 0x1000
	s_waitcnt vmcnt(6) lgkmcnt(2)
	v_mul_f32_e32 v36, v17, v9
	v_mul_f32_e32 v9, v16, v9
	s_waitcnt vmcnt(4) lgkmcnt(1)
	v_mul_f32_e32 v38, v3, v13
	s_waitcnt vmcnt(3) lgkmcnt(0)
	v_mul_f32_e32 v39, v5, v15
	v_mul_f32_e32 v15, v4, v15
	v_fmac_f32_e32 v39, v4, v14
	v_fma_f32 v41, v14, v5, -v15
	global_load_dwordx2 v[4:5], v46, s[12:13] offset:3136
	v_mul_f32_e32 v13, v2, v13
	v_fmac_f32_e32 v36, v16, v8
	v_fmac_f32_e32 v38, v2, v12
	v_fma_f32 v16, v12, v3, -v13
	v_fma_f32 v8, v8, v17, -v9
	v_cvt_f64_f32_e32 v[12:13], v38
	v_cvt_f64_f32_e32 v[14:15], v16
	;; [unrolled: 1-line block ×3, first 2 shown]
	global_load_dwordx2 v[38:39], v46, s[12:13] offset:3584
	v_mul_f32_e32 v37, v1, v11
	v_mul_f32_e32 v11, v0, v11
	v_fmac_f32_e32 v37, v0, v10
	v_fma_f32 v10, v10, v1, -v11
	v_cvt_f64_f32_e32 v[0:1], v36
	v_cvt_f64_f32_e32 v[2:3], v8
	;; [unrolled: 1-line block ×5, first 2 shown]
	v_mul_f64 v[0:1], v[0:1], s[0:1]
	v_mul_f64 v[2:3], v[2:3], s[0:1]
	;; [unrolled: 1-line block ×8, first 2 shown]
	v_cvt_f32_f64_e32 v0, v[0:1]
	v_cvt_f32_f64_e32 v1, v[2:3]
	;; [unrolled: 1-line block ×8, first 2 shown]
	global_store_dwordx2 v[22:23], v[0:1], off
	global_store_dwordx2 v[24:25], v[2:3], off
	;; [unrolled: 1-line block ×4, first 2 shown]
	s_waitcnt vmcnt(8)
	v_mul_f32_e32 v0, v7, v21
	v_fmac_f32_e32 v0, v6, v20
	v_cvt_f64_f32_e32 v[0:1], v0
	v_mul_f64 v[0:1], v[0:1], s[0:1]
	v_cvt_f32_f64_e32 v8, v[0:1]
	v_mul_f32_e32 v0, v6, v21
	v_fma_f32 v0, v20, v7, -v0
	global_load_dwordx2 v[6:7], v46, s[12:13] offset:4032
	v_cvt_f64_f32_e32 v[0:1], v0
	v_mul_f64 v[0:1], v[0:1], s[0:1]
	v_mad_u64_u32 v[10:11], s[4:5], s8, v40, v[34:35]
	v_cvt_f32_f64_e32 v9, v[0:1]
	v_add_u32_e32 v11, s2, v11
	global_store_dwordx2 v[10:11], v[8:9], off
	v_add_co_u32_e32 v8, vcc, s3, v32
	v_add_u32_e32 v14, 0x800, v46
	s_nop 0
	v_addc_co_u32_e32 v9, vcc, 0, v33, vcc
	global_load_dwordx2 v[8:9], v[8:9], off offset:384
	ds_read2_b64 v[0:3], v14 offset0:24 offset1:80
	v_mad_u64_u32 v[10:11], s[4:5], s8, v40, v[10:11]
	v_add_u32_e32 v11, s2, v11
	v_or_b32_e32 v15, 0x1c0, v49
	s_waitcnt vmcnt(10) lgkmcnt(0)
	v_mul_f32_e32 v12, v1, v27
	v_fmac_f32_e32 v12, v0, v26
	v_mul_f32_e32 v0, v0, v27
	v_fma_f32 v0, v26, v1, -v0
	v_cvt_f64_f32_e32 v[12:13], v12
	v_cvt_f64_f32_e32 v[0:1], v0
	v_mul_f64 v[12:13], v[12:13], s[0:1]
	v_mul_f64 v[0:1], v[0:1], s[0:1]
	v_cvt_f32_f64_e32 v12, v[12:13]
	v_cvt_f32_f64_e32 v13, v[0:1]
	s_waitcnt vmcnt(9)
	v_mul_f32_e32 v0, v3, v29
	v_fmac_f32_e32 v0, v2, v28
	v_cvt_f64_f32_e32 v[0:1], v0
	v_mul_f64 v[0:1], v[0:1], s[0:1]
	global_store_dwordx2 v[10:11], v[12:13], off
	v_cvt_f32_f64_e32 v12, v[0:1]
	v_mul_f32_e32 v0, v2, v29
	v_fma_f32 v0, v28, v3, -v0
	v_cvt_f64_f32_e32 v[0:1], v0
	v_mul_f64 v[0:1], v[0:1], s[0:1]
	v_cvt_f32_f64_e32 v13, v[0:1]
	ds_read2_b64 v[0:3], v14 offset0:136 offset1:192
	v_mad_u64_u32 v[10:11], s[4:5], s8, v40, v[10:11]
	v_add_u32_e32 v11, s2, v11
	global_store_dwordx2 v[10:11], v[12:13], off
	s_waitcnt vmcnt(10) lgkmcnt(0)
	v_mul_f32_e32 v12, v1, v5
	v_fmac_f32_e32 v12, v0, v4
	v_mul_f32_e32 v0, v0, v5
	v_fma_f32 v0, v4, v1, -v0
	v_cvt_f64_f32_e32 v[12:13], v12
	v_cvt_f64_f32_e32 v[0:1], v0
	v_mul_f64 v[12:13], v[12:13], s[0:1]
	v_mul_f64 v[0:1], v[0:1], s[0:1]
	v_cvt_f32_f64_e32 v12, v[12:13]
	v_cvt_f32_f64_e32 v13, v[0:1]
	s_waitcnt vmcnt(9)
	v_mul_f32_e32 v0, v3, v39
	v_fmac_f32_e32 v0, v2, v38
	v_cvt_f64_f32_e32 v[0:1], v0
	v_mul_f64 v[0:1], v[0:1], s[0:1]
	v_mad_u64_u32 v[4:5], s[4:5], s8, v40, v[10:11]
	v_cvt_f32_f64_e32 v10, v[0:1]
	v_mul_f32_e32 v0, v2, v39
	v_fma_f32 v0, v38, v3, -v0
	v_cvt_f64_f32_e32 v[0:1], v0
	v_mul_f64 v[0:1], v[0:1], s[0:1]
	v_add_u32_e32 v5, s2, v5
	v_cvt_f32_f64_e32 v11, v[0:1]
	v_add_u32_e32 v0, 0xc00, v46
	global_store_dwordx2 v[4:5], v[12:13], off
	v_mad_u64_u32 v[12:13], s[4:5], s8, v15, 0
	ds_read2_b64 v[0:3], v0 offset0:120 offset1:176
	v_mov_b32_e32 v14, v13
	v_mad_u64_u32 v[14:15], s[4:5], s9, v15, v[14:15]
	v_mov_b32_e32 v13, v14
	v_lshl_add_u64 v[12:13], v[12:13], 3, v[18:19]
	global_store_dwordx2 v[12:13], v[10:11], off
	s_mul_i32 s3, s9, 0x380
	s_waitcnt vmcnt(6) lgkmcnt(0)
	v_mul_f32_e32 v10, v1, v7
	v_fmac_f32_e32 v10, v0, v6
	v_mul_f32_e32 v0, v0, v7
	v_fma_f32 v0, v6, v1, -v0
	v_cvt_f64_f32_e32 v[10:11], v10
	v_cvt_f64_f32_e32 v[0:1], v0
	v_mul_f64 v[10:11], v[10:11], s[0:1]
	v_mul_f64 v[0:1], v[0:1], s[0:1]
	v_cvt_f32_f64_e32 v10, v[10:11]
	v_cvt_f32_f64_e32 v11, v[0:1]
	v_mov_b32_e32 v0, 0x380
	v_mad_u64_u32 v[0:1], s[4:5], s8, v0, v[4:5]
	s_waitcnt vmcnt(4)
	v_mul_f32_e32 v4, v3, v9
	v_fmac_f32_e32 v4, v2, v8
	v_mul_f32_e32 v2, v2, v9
	v_fma_f32 v2, v8, v3, -v2
	v_add_u32_e32 v1, s3, v1
	v_cvt_f64_f32_e32 v[4:5], v4
	v_cvt_f64_f32_e32 v[2:3], v2
	global_store_dwordx2 v[0:1], v[10:11], off
	v_mul_f64 v[4:5], v[4:5], s[0:1]
	v_mul_f64 v[2:3], v[2:3], s[0:1]
	v_mad_u64_u32 v[0:1], s[0:1], s8, v40, v[0:1]
	v_cvt_f32_f64_e32 v4, v[4:5]
	v_cvt_f32_f64_e32 v5, v[2:3]
	v_add_u32_e32 v1, s2, v1
	global_store_dwordx2 v[0:1], v[4:5], off
.LBB0_23:
	s_endpgm
	.section	.rodata,"a",@progbits
	.p2align	6, 0x0
	.amdhsa_kernel bluestein_single_fwd_len616_dim1_sp_op_CI_CI
		.amdhsa_group_segment_fixed_size 4928
		.amdhsa_private_segment_fixed_size 0
		.amdhsa_kernarg_size 104
		.amdhsa_user_sgpr_count 2
		.amdhsa_user_sgpr_dispatch_ptr 0
		.amdhsa_user_sgpr_queue_ptr 0
		.amdhsa_user_sgpr_kernarg_segment_ptr 1
		.amdhsa_user_sgpr_dispatch_id 0
		.amdhsa_user_sgpr_kernarg_preload_length 0
		.amdhsa_user_sgpr_kernarg_preload_offset 0
		.amdhsa_user_sgpr_private_segment_size 0
		.amdhsa_uses_dynamic_stack 0
		.amdhsa_enable_private_segment 0
		.amdhsa_system_sgpr_workgroup_id_x 1
		.amdhsa_system_sgpr_workgroup_id_y 0
		.amdhsa_system_sgpr_workgroup_id_z 0
		.amdhsa_system_sgpr_workgroup_info 0
		.amdhsa_system_vgpr_workitem_id 0
		.amdhsa_next_free_vgpr 144
		.amdhsa_next_free_sgpr 50
		.amdhsa_accum_offset 144
		.amdhsa_reserve_vcc 1
		.amdhsa_float_round_mode_32 0
		.amdhsa_float_round_mode_16_64 0
		.amdhsa_float_denorm_mode_32 3
		.amdhsa_float_denorm_mode_16_64 3
		.amdhsa_dx10_clamp 1
		.amdhsa_ieee_mode 1
		.amdhsa_fp16_overflow 0
		.amdhsa_tg_split 0
		.amdhsa_exception_fp_ieee_invalid_op 0
		.amdhsa_exception_fp_denorm_src 0
		.amdhsa_exception_fp_ieee_div_zero 0
		.amdhsa_exception_fp_ieee_overflow 0
		.amdhsa_exception_fp_ieee_underflow 0
		.amdhsa_exception_fp_ieee_inexact 0
		.amdhsa_exception_int_div_zero 0
	.end_amdhsa_kernel
	.text
.Lfunc_end0:
	.size	bluestein_single_fwd_len616_dim1_sp_op_CI_CI, .Lfunc_end0-bluestein_single_fwd_len616_dim1_sp_op_CI_CI
                                        ; -- End function
	.section	.AMDGPU.csdata,"",@progbits
; Kernel info:
; codeLenInByte = 10040
; NumSgprs: 56
; NumVgprs: 144
; NumAgprs: 0
; TotalNumVgprs: 144
; ScratchSize: 0
; MemoryBound: 0
; FloatMode: 240
; IeeeMode: 1
; LDSByteSize: 4928 bytes/workgroup (compile time only)
; SGPRBlocks: 6
; VGPRBlocks: 17
; NumSGPRsForWavesPerEU: 56
; NumVGPRsForWavesPerEU: 144
; AccumOffset: 144
; Occupancy: 3
; WaveLimiterHint : 1
; COMPUTE_PGM_RSRC2:SCRATCH_EN: 0
; COMPUTE_PGM_RSRC2:USER_SGPR: 2
; COMPUTE_PGM_RSRC2:TRAP_HANDLER: 0
; COMPUTE_PGM_RSRC2:TGID_X_EN: 1
; COMPUTE_PGM_RSRC2:TGID_Y_EN: 0
; COMPUTE_PGM_RSRC2:TGID_Z_EN: 0
; COMPUTE_PGM_RSRC2:TIDIG_COMP_CNT: 0
; COMPUTE_PGM_RSRC3_GFX90A:ACCUM_OFFSET: 35
; COMPUTE_PGM_RSRC3_GFX90A:TG_SPLIT: 0
	.text
	.p2alignl 6, 3212836864
	.fill 256, 4, 3212836864
	.type	__hip_cuid_fd4e9f74225c8516,@object ; @__hip_cuid_fd4e9f74225c8516
	.section	.bss,"aw",@nobits
	.globl	__hip_cuid_fd4e9f74225c8516
__hip_cuid_fd4e9f74225c8516:
	.byte	0                               ; 0x0
	.size	__hip_cuid_fd4e9f74225c8516, 1

	.ident	"AMD clang version 19.0.0git (https://github.com/RadeonOpenCompute/llvm-project roc-6.4.0 25133 c7fe45cf4b819c5991fe208aaa96edf142730f1d)"
	.section	".note.GNU-stack","",@progbits
	.addrsig
	.addrsig_sym __hip_cuid_fd4e9f74225c8516
	.amdgpu_metadata
---
amdhsa.kernels:
  - .agpr_count:     0
    .args:
      - .actual_access:  read_only
        .address_space:  global
        .offset:         0
        .size:           8
        .value_kind:     global_buffer
      - .actual_access:  read_only
        .address_space:  global
        .offset:         8
        .size:           8
        .value_kind:     global_buffer
      - .actual_access:  read_only
        .address_space:  global
        .offset:         16
        .size:           8
        .value_kind:     global_buffer
      - .actual_access:  read_only
        .address_space:  global
        .offset:         24
        .size:           8
        .value_kind:     global_buffer
      - .actual_access:  read_only
        .address_space:  global
        .offset:         32
        .size:           8
        .value_kind:     global_buffer
      - .offset:         40
        .size:           8
        .value_kind:     by_value
      - .address_space:  global
        .offset:         48
        .size:           8
        .value_kind:     global_buffer
      - .address_space:  global
        .offset:         56
        .size:           8
        .value_kind:     global_buffer
      - .address_space:  global
        .offset:         64
        .size:           8
        .value_kind:     global_buffer
      - .address_space:  global
        .offset:         72
        .size:           8
        .value_kind:     global_buffer
      - .offset:         80
        .size:           4
        .value_kind:     by_value
      - .address_space:  global
        .offset:         88
        .size:           8
        .value_kind:     global_buffer
      - .address_space:  global
        .offset:         96
        .size:           8
        .value_kind:     global_buffer
    .group_segment_fixed_size: 4928
    .kernarg_segment_align: 8
    .kernarg_segment_size: 104
    .language:       OpenCL C
    .language_version:
      - 2
      - 0
    .max_flat_workgroup_size: 88
    .name:           bluestein_single_fwd_len616_dim1_sp_op_CI_CI
    .private_segment_fixed_size: 0
    .sgpr_count:     56
    .sgpr_spill_count: 0
    .symbol:         bluestein_single_fwd_len616_dim1_sp_op_CI_CI.kd
    .uniform_work_group_size: 1
    .uses_dynamic_stack: false
    .vgpr_count:     144
    .vgpr_spill_count: 0
    .wavefront_size: 64
amdhsa.target:   amdgcn-amd-amdhsa--gfx950
amdhsa.version:
  - 1
  - 2
...

	.end_amdgpu_metadata
